;; amdgpu-corpus repo=ROCm/rocFFT kind=compiled arch=gfx906 opt=O3
	.text
	.amdgcn_target "amdgcn-amd-amdhsa--gfx906"
	.amdhsa_code_object_version 6
	.protected	fft_rtc_back_len1980_factors_11_2_3_3_5_2_wgs_198_tpt_198_halfLds_dp_ip_CI_sbrr_dirReg ; -- Begin function fft_rtc_back_len1980_factors_11_2_3_3_5_2_wgs_198_tpt_198_halfLds_dp_ip_CI_sbrr_dirReg
	.globl	fft_rtc_back_len1980_factors_11_2_3_3_5_2_wgs_198_tpt_198_halfLds_dp_ip_CI_sbrr_dirReg
	.p2align	8
	.type	fft_rtc_back_len1980_factors_11_2_3_3_5_2_wgs_198_tpt_198_halfLds_dp_ip_CI_sbrr_dirReg,@function
fft_rtc_back_len1980_factors_11_2_3_3_5_2_wgs_198_tpt_198_halfLds_dp_ip_CI_sbrr_dirReg: ; @fft_rtc_back_len1980_factors_11_2_3_3_5_2_wgs_198_tpt_198_halfLds_dp_ip_CI_sbrr_dirReg
; %bb.0:
	s_load_dwordx2 s[2:3], s[4:5], 0x18
	s_load_dwordx4 s[8:11], s[4:5], 0x0
	s_load_dwordx2 s[14:15], s[4:5], 0x50
	v_mul_u32_u24_e32 v1, 0x14b, v0
	v_add_u32_sdwa v5, s6, v1 dst_sel:DWORD dst_unused:UNUSED_PAD src0_sel:DWORD src1_sel:WORD_1
	s_waitcnt lgkmcnt(0)
	s_load_dwordx2 s[12:13], s[2:3], 0x0
	v_cmp_lt_u64_e64 s[0:1], s[10:11], 2
	v_mov_b32_e32 v3, 0
	v_mov_b32_e32 v1, 0
	;; [unrolled: 1-line block ×3, first 2 shown]
	s_and_b64 vcc, exec, s[0:1]
	v_mov_b32_e32 v2, 0
	s_cbranch_vccnz .LBB0_8
; %bb.1:
	s_load_dwordx2 s[0:1], s[4:5], 0x10
	s_add_u32 s6, s2, 8
	s_addc_u32 s7, s3, 0
	v_mov_b32_e32 v1, 0
	v_mov_b32_e32 v2, 0
	s_waitcnt lgkmcnt(0)
	s_add_u32 s16, s0, 8
	s_addc_u32 s17, s1, 0
	s_mov_b64 s[18:19], 1
.LBB0_2:                                ; =>This Inner Loop Header: Depth=1
	s_load_dwordx2 s[20:21], s[16:17], 0x0
                                        ; implicit-def: $vgpr7_vgpr8
	s_waitcnt lgkmcnt(0)
	v_or_b32_e32 v4, s21, v6
	v_cmp_ne_u64_e32 vcc, 0, v[3:4]
	s_and_saveexec_b64 s[0:1], vcc
	s_xor_b64 s[22:23], exec, s[0:1]
	s_cbranch_execz .LBB0_4
; %bb.3:                                ;   in Loop: Header=BB0_2 Depth=1
	v_cvt_f32_u32_e32 v4, s20
	v_cvt_f32_u32_e32 v7, s21
	s_sub_u32 s0, 0, s20
	s_subb_u32 s1, 0, s21
	v_mac_f32_e32 v4, 0x4f800000, v7
	v_rcp_f32_e32 v4, v4
	v_mul_f32_e32 v4, 0x5f7ffffc, v4
	v_mul_f32_e32 v7, 0x2f800000, v4
	v_trunc_f32_e32 v7, v7
	v_mac_f32_e32 v4, 0xcf800000, v7
	v_cvt_u32_f32_e32 v7, v7
	v_cvt_u32_f32_e32 v4, v4
	v_mul_lo_u32 v8, s0, v7
	v_mul_hi_u32 v9, s0, v4
	v_mul_lo_u32 v11, s1, v4
	v_mul_lo_u32 v10, s0, v4
	v_add_u32_e32 v8, v9, v8
	v_add_u32_e32 v8, v8, v11
	v_mul_hi_u32 v9, v4, v10
	v_mul_lo_u32 v11, v4, v8
	v_mul_hi_u32 v13, v4, v8
	v_mul_hi_u32 v12, v7, v10
	v_mul_lo_u32 v10, v7, v10
	v_mul_hi_u32 v14, v7, v8
	v_add_co_u32_e32 v9, vcc, v9, v11
	v_addc_co_u32_e32 v11, vcc, 0, v13, vcc
	v_mul_lo_u32 v8, v7, v8
	v_add_co_u32_e32 v9, vcc, v9, v10
	v_addc_co_u32_e32 v9, vcc, v11, v12, vcc
	v_addc_co_u32_e32 v10, vcc, 0, v14, vcc
	v_add_co_u32_e32 v8, vcc, v9, v8
	v_addc_co_u32_e32 v9, vcc, 0, v10, vcc
	v_add_co_u32_e32 v4, vcc, v4, v8
	v_addc_co_u32_e32 v7, vcc, v7, v9, vcc
	v_mul_lo_u32 v8, s0, v7
	v_mul_hi_u32 v9, s0, v4
	v_mul_lo_u32 v10, s1, v4
	v_mul_lo_u32 v11, s0, v4
	v_add_u32_e32 v8, v9, v8
	v_add_u32_e32 v8, v8, v10
	v_mul_lo_u32 v12, v4, v8
	v_mul_hi_u32 v13, v4, v11
	v_mul_hi_u32 v14, v4, v8
	;; [unrolled: 1-line block ×3, first 2 shown]
	v_mul_lo_u32 v11, v7, v11
	v_mul_hi_u32 v9, v7, v8
	v_add_co_u32_e32 v12, vcc, v13, v12
	v_addc_co_u32_e32 v13, vcc, 0, v14, vcc
	v_mul_lo_u32 v8, v7, v8
	v_add_co_u32_e32 v11, vcc, v12, v11
	v_addc_co_u32_e32 v10, vcc, v13, v10, vcc
	v_addc_co_u32_e32 v9, vcc, 0, v9, vcc
	v_add_co_u32_e32 v8, vcc, v10, v8
	v_addc_co_u32_e32 v9, vcc, 0, v9, vcc
	v_add_co_u32_e32 v4, vcc, v4, v8
	v_addc_co_u32_e32 v9, vcc, v7, v9, vcc
	v_mad_u64_u32 v[7:8], s[0:1], v5, v9, 0
	v_mul_hi_u32 v10, v5, v4
	v_add_co_u32_e32 v11, vcc, v10, v7
	v_addc_co_u32_e32 v12, vcc, 0, v8, vcc
	v_mad_u64_u32 v[7:8], s[0:1], v6, v4, 0
	v_mad_u64_u32 v[9:10], s[0:1], v6, v9, 0
	v_add_co_u32_e32 v4, vcc, v11, v7
	v_addc_co_u32_e32 v4, vcc, v12, v8, vcc
	v_addc_co_u32_e32 v7, vcc, 0, v10, vcc
	v_add_co_u32_e32 v4, vcc, v4, v9
	v_addc_co_u32_e32 v9, vcc, 0, v7, vcc
	v_mul_lo_u32 v10, s21, v4
	v_mul_lo_u32 v11, s20, v9
	v_mad_u64_u32 v[7:8], s[0:1], s20, v4, 0
	v_add3_u32 v8, v8, v11, v10
	v_sub_u32_e32 v10, v6, v8
	v_mov_b32_e32 v11, s21
	v_sub_co_u32_e32 v7, vcc, v5, v7
	v_subb_co_u32_e64 v10, s[0:1], v10, v11, vcc
	v_subrev_co_u32_e64 v11, s[0:1], s20, v7
	v_subbrev_co_u32_e64 v10, s[0:1], 0, v10, s[0:1]
	v_cmp_le_u32_e64 s[0:1], s21, v10
	v_cndmask_b32_e64 v12, 0, -1, s[0:1]
	v_cmp_le_u32_e64 s[0:1], s20, v11
	v_cndmask_b32_e64 v11, 0, -1, s[0:1]
	v_cmp_eq_u32_e64 s[0:1], s21, v10
	v_cndmask_b32_e64 v10, v12, v11, s[0:1]
	v_add_co_u32_e64 v11, s[0:1], 2, v4
	v_addc_co_u32_e64 v12, s[0:1], 0, v9, s[0:1]
	v_add_co_u32_e64 v13, s[0:1], 1, v4
	v_addc_co_u32_e64 v14, s[0:1], 0, v9, s[0:1]
	v_subb_co_u32_e32 v8, vcc, v6, v8, vcc
	v_cmp_ne_u32_e64 s[0:1], 0, v10
	v_cmp_le_u32_e32 vcc, s21, v8
	v_cndmask_b32_e64 v10, v14, v12, s[0:1]
	v_cndmask_b32_e64 v12, 0, -1, vcc
	v_cmp_le_u32_e32 vcc, s20, v7
	v_cndmask_b32_e64 v7, 0, -1, vcc
	v_cmp_eq_u32_e32 vcc, s21, v8
	v_cndmask_b32_e32 v7, v12, v7, vcc
	v_cmp_ne_u32_e32 vcc, 0, v7
	v_cndmask_b32_e64 v7, v13, v11, s[0:1]
	v_cndmask_b32_e32 v8, v9, v10, vcc
	v_cndmask_b32_e32 v7, v4, v7, vcc
.LBB0_4:                                ;   in Loop: Header=BB0_2 Depth=1
	s_andn2_saveexec_b64 s[0:1], s[22:23]
	s_cbranch_execz .LBB0_6
; %bb.5:                                ;   in Loop: Header=BB0_2 Depth=1
	v_cvt_f32_u32_e32 v4, s20
	s_sub_i32 s22, 0, s20
	v_rcp_iflag_f32_e32 v4, v4
	v_mul_f32_e32 v4, 0x4f7ffffe, v4
	v_cvt_u32_f32_e32 v4, v4
	v_mul_lo_u32 v7, s22, v4
	v_mul_hi_u32 v7, v4, v7
	v_add_u32_e32 v4, v4, v7
	v_mul_hi_u32 v4, v5, v4
	v_mul_lo_u32 v7, v4, s20
	v_add_u32_e32 v8, 1, v4
	v_sub_u32_e32 v7, v5, v7
	v_subrev_u32_e32 v9, s20, v7
	v_cmp_le_u32_e32 vcc, s20, v7
	v_cndmask_b32_e32 v7, v7, v9, vcc
	v_cndmask_b32_e32 v4, v4, v8, vcc
	v_add_u32_e32 v8, 1, v4
	v_cmp_le_u32_e32 vcc, s20, v7
	v_cndmask_b32_e32 v7, v4, v8, vcc
	v_mov_b32_e32 v8, v3
.LBB0_6:                                ;   in Loop: Header=BB0_2 Depth=1
	s_or_b64 exec, exec, s[0:1]
	v_mul_lo_u32 v4, v8, s20
	v_mul_lo_u32 v11, v7, s21
	v_mad_u64_u32 v[9:10], s[0:1], v7, s20, 0
	s_load_dwordx2 s[0:1], s[6:7], 0x0
	s_add_u32 s18, s18, 1
	v_add3_u32 v4, v10, v11, v4
	v_sub_co_u32_e32 v5, vcc, v5, v9
	v_subb_co_u32_e32 v4, vcc, v6, v4, vcc
	s_waitcnt lgkmcnt(0)
	v_mul_lo_u32 v4, s0, v4
	v_mul_lo_u32 v6, s1, v5
	v_mad_u64_u32 v[1:2], s[0:1], s0, v5, v[1:2]
	s_addc_u32 s19, s19, 0
	s_add_u32 s6, s6, 8
	v_add3_u32 v2, v6, v2, v4
	v_mov_b32_e32 v4, s10
	v_mov_b32_e32 v5, s11
	s_addc_u32 s7, s7, 0
	v_cmp_ge_u64_e32 vcc, s[18:19], v[4:5]
	s_add_u32 s16, s16, 8
	s_addc_u32 s17, s17, 0
	s_cbranch_vccnz .LBB0_9
; %bb.7:                                ;   in Loop: Header=BB0_2 Depth=1
	v_mov_b32_e32 v5, v7
	v_mov_b32_e32 v6, v8
	s_branch .LBB0_2
.LBB0_8:
	v_mov_b32_e32 v8, v6
	v_mov_b32_e32 v7, v5
.LBB0_9:
	s_lshl_b64 s[0:1], s[10:11], 3
	s_add_u32 s0, s2, s0
	s_addc_u32 s1, s3, s1
	s_load_dwordx2 s[2:3], s[0:1], 0x0
	s_load_dwordx2 s[6:7], s[4:5], 0x20
                                        ; implicit-def: $vgpr14_vgpr15
                                        ; implicit-def: $vgpr18_vgpr19
                                        ; implicit-def: $vgpr22_vgpr23
                                        ; implicit-def: $vgpr26_vgpr27
                                        ; implicit-def: $vgpr30_vgpr31
                                        ; implicit-def: $vgpr34_vgpr35
                                        ; implicit-def: $vgpr38_vgpr39
                                        ; implicit-def: $vgpr42_vgpr43
                                        ; implicit-def: $vgpr10_vgpr11
	s_waitcnt lgkmcnt(0)
	v_mad_u64_u32 v[1:2], s[0:1], s2, v7, v[1:2]
	s_mov_b32 s0, 0x14afd6b
	v_mul_lo_u32 v3, s2, v8
	v_mul_lo_u32 v4, s3, v7
	v_mul_hi_u32 v5, v0, s0
	v_cmp_gt_u64_e32 vcc, s[6:7], v[7:8]
	s_movk_i32 s0, 0xb4
	v_add3_u32 v2, v4, v2, v3
	v_mul_u32_u24_e32 v3, 0xc6, v5
	v_sub_u32_e32 v72, v0, v3
	v_cmp_gt_u32_e64 s[0:1], s0, v72
	v_lshlrev_b64 v[74:75], 4, v[1:2]
	s_and_b64 s[2:3], vcc, s[0:1]
                                        ; implicit-def: $vgpr2_vgpr3
                                        ; implicit-def: $vgpr6_vgpr7
	s_and_saveexec_b64 s[4:5], s[2:3]
	s_cbranch_execz .LBB0_11
; %bb.10:
	v_mad_u64_u32 v[0:1], s[2:3], s12, v72, 0
	v_add_u32_e32 v5, 0xb4, v72
	v_mov_b32_e32 v4, s15
	v_mad_u64_u32 v[1:2], s[2:3], s13, v72, v[1:2]
	v_mad_u64_u32 v[2:3], s[2:3], s12, v5, 0
	v_add_co_u32_e64 v8, s[2:3], s14, v74
	v_addc_co_u32_e64 v9, s[2:3], v4, v75, s[2:3]
	v_mad_u64_u32 v[3:4], s[2:3], s13, v5, v[3:4]
	v_add_u32_e32 v6, 0x168, v72
	v_mad_u64_u32 v[4:5], s[2:3], s12, v6, 0
	v_lshlrev_b64 v[0:1], 4, v[0:1]
	v_add_co_u32_e64 v44, s[2:3], v8, v0
	v_addc_co_u32_e64 v45, s[2:3], v9, v1, s[2:3]
	v_lshlrev_b64 v[0:1], 4, v[2:3]
	v_mov_b32_e32 v2, v5
	v_mad_u64_u32 v[2:3], s[2:3], s13, v6, v[2:3]
	v_add_u32_e32 v3, 0x21c, v72
	v_mad_u64_u32 v[6:7], s[2:3], s12, v3, 0
	v_add_co_u32_e64 v46, s[2:3], v8, v0
	v_mov_b32_e32 v5, v2
	v_mov_b32_e32 v2, v7
	v_addc_co_u32_e64 v47, s[2:3], v9, v1, s[2:3]
	v_lshlrev_b64 v[0:1], 4, v[4:5]
	v_mad_u64_u32 v[2:3], s[2:3], s13, v3, v[2:3]
	v_add_u32_e32 v5, 0x2d0, v72
	v_mad_u64_u32 v[3:4], s[2:3], s12, v5, 0
	v_add_co_u32_e64 v48, s[2:3], v8, v0
	v_mov_b32_e32 v7, v2
	v_mov_b32_e32 v2, v4
	v_addc_co_u32_e64 v49, s[2:3], v9, v1, s[2:3]
	v_lshlrev_b64 v[0:1], 4, v[6:7]
	v_mad_u64_u32 v[4:5], s[2:3], s13, v5, v[2:3]
	v_add_u32_e32 v7, 0x384, v72
	v_mad_u64_u32 v[5:6], s[2:3], s12, v7, 0
	v_add_co_u32_e64 v50, s[2:3], v8, v0
	v_mov_b32_e32 v2, v6
	v_addc_co_u32_e64 v51, s[2:3], v9, v1, s[2:3]
	v_lshlrev_b64 v[0:1], 4, v[3:4]
	v_mad_u64_u32 v[2:3], s[2:3], s13, v7, v[2:3]
	v_add_u32_e32 v7, 0x438, v72
	v_mad_u64_u32 v[3:4], s[2:3], s12, v7, 0
	v_add_co_u32_e64 v52, s[2:3], v8, v0
	v_mov_b32_e32 v6, v2
	v_mov_b32_e32 v2, v4
	v_addc_co_u32_e64 v53, s[2:3], v9, v1, s[2:3]
	v_lshlrev_b64 v[0:1], 4, v[5:6]
	v_mad_u64_u32 v[4:5], s[2:3], s13, v7, v[2:3]
	v_add_u32_e32 v7, 0x4ec, v72
	v_mad_u64_u32 v[5:6], s[2:3], s12, v7, 0
	v_add_co_u32_e64 v54, s[2:3], v8, v0
	;; [unrolled: 15-line block ×3, first 2 shown]
	v_mov_b32_e32 v2, v6
	v_addc_co_u32_e64 v59, s[2:3], v9, v1, s[2:3]
	v_lshlrev_b64 v[0:1], 4, v[3:4]
	v_mad_u64_u32 v[2:3], s[2:3], s13, v7, v[2:3]
	v_add_u32_e32 v7, 0x708, v72
	v_mad_u64_u32 v[3:4], s[2:3], s12, v7, 0
	v_add_co_u32_e64 v60, s[2:3], v8, v0
	v_mov_b32_e32 v6, v2
	v_mov_b32_e32 v2, v4
	v_addc_co_u32_e64 v61, s[2:3], v9, v1, s[2:3]
	v_lshlrev_b64 v[0:1], 4, v[5:6]
	v_mad_u64_u32 v[4:5], s[2:3], s13, v7, v[2:3]
	v_add_co_u32_e64 v62, s[2:3], v8, v0
	v_addc_co_u32_e64 v63, s[2:3], v9, v1, s[2:3]
	v_lshlrev_b64 v[0:1], 4, v[3:4]
	v_add_co_u32_e64 v64, s[2:3], v8, v0
	v_addc_co_u32_e64 v65, s[2:3], v9, v1, s[2:3]
	global_load_dwordx4 v[8:11], v[44:45], off
	global_load_dwordx4 v[40:43], v[46:47], off
	;; [unrolled: 1-line block ×11, first 2 shown]
.LBB0_11:
	s_or_b64 exec, exec, s[4:5]
	s_waitcnt vmcnt(0)
	v_add_f64 v[48:49], v[42:43], -v[2:3]
	s_mov_b32 s10, 0xf8bb580b
	s_mov_b32 s11, 0xbfe14ced
	v_add_f64 v[44:45], v[0:1], v[40:41]
	v_add_f64 v[52:53], v[38:39], -v[6:7]
	s_mov_b32 s2, 0x8764f0ba
	s_mov_b32 s16, 0x8eee2c13
	;; [unrolled: 1-line block ×3, first 2 shown]
	v_mul_f64 v[46:47], v[48:49], s[10:11]
	s_mov_b32 s17, 0xbfed1bb4
	v_add_f64 v[50:51], v[4:5], v[36:37]
	v_add_f64 v[58:59], v[34:35], -v[14:15]
	v_mul_f64 v[54:55], v[52:53], s[16:17]
	s_mov_b32 s4, 0xd9c712b6
	s_mov_b32 s20, 0x43842ef
	;; [unrolled: 1-line block ×3, first 2 shown]
	v_fma_f64 v[62:63], v[44:45], s[2:3], -v[46:47]
	s_mov_b32 s21, 0xbfefac9e
	v_add_f64 v[56:57], v[12:13], v[32:33]
	v_add_f64 v[64:65], v[30:31], -v[18:19]
	v_mul_f64 v[60:61], v[58:59], s[20:21]
	v_fma_f64 v[70:71], v[50:51], s[4:5], -v[54:55]
	s_mov_b32 s6, 0x640f44db
	s_mov_b32 s24, 0xbb3a28a1
	v_add_f64 v[62:63], v[8:9], v[62:63]
	s_mov_b32 s7, 0xbfc2375f
	s_mov_b32 s25, 0xbfe82f19
	v_add_f64 v[66:67], v[16:17], v[28:29]
	v_mul_f64 v[68:69], v[64:65], s[24:25]
	v_fma_f64 v[76:77], v[56:57], s[6:7], -v[60:61]
	s_mov_b32 s18, 0x7f775887
	s_mov_b32 s26, 0xfd768dbf
	v_add_f64 v[78:79], v[70:71], v[62:63]
	v_add_f64 v[62:63], v[26:27], -v[22:23]
	s_mov_b32 s19, 0xbfe4f49e
	s_mov_b32 s27, 0xbfd207e7
	v_add_f64 v[70:71], v[20:21], v[24:25]
	v_fma_f64 v[80:81], v[66:67], s[18:19], -v[68:69]
	s_mov_b32 s22, 0x9bcd5057
	s_mov_b32 s23, 0xbfeeb42a
	v_add_f64 v[78:79], v[76:77], v[78:79]
	v_mul_f64 v[76:77], v[62:63], s[26:27]
	v_add_f64 v[78:79], v[80:81], v[78:79]
	v_fma_f64 v[80:81], v[70:71], s[22:23], -v[76:77]
	v_add_f64 v[81:82], v[80:81], v[78:79]
	s_and_saveexec_b64 s[28:29], s[0:1]
	s_cbranch_execz .LBB0_13
; %bb.12:
	v_mul_f64 v[78:79], v[44:45], s[22:23]
	s_mov_b32 s37, 0x3fd207e7
	s_mov_b32 s36, s26
	v_mul_f64 v[83:84], v[50:51], s[2:3]
	v_mul_f64 v[85:86], v[44:45], s[18:19]
	s_mov_b32 s31, 0x3fe14ced
	s_mov_b32 s30, s10
	s_mov_b32 s35, 0x3fe82f19
	v_fma_f64 v[87:88], v[48:49], s[36:37], v[78:79]
	v_fma_f64 v[78:79], v[48:49], s[26:27], v[78:79]
	s_mov_b32 s34, s24
	v_mul_f64 v[89:90], v[50:51], s[6:7]
	v_mul_f64 v[91:92], v[56:57], s[18:19]
	v_fma_f64 v[95:96], v[52:53], s[10:11], v[83:84]
	v_fma_f64 v[97:98], v[48:49], s[34:35], v[85:86]
	;; [unrolled: 1-line block ×3, first 2 shown]
	v_add_f64 v[87:88], v[8:9], v[87:88]
	v_add_f64 v[78:79], v[8:9], v[78:79]
	v_mul_f64 v[93:94], v[56:57], s[2:3]
	v_mul_f64 v[99:100], v[66:67], s[4:5]
	v_fma_f64 v[101:102], v[52:53], s[20:21], v[89:90]
	v_fma_f64 v[103:104], v[58:59], s[34:35], v[91:92]
	v_add_f64 v[97:98], v[8:9], v[97:98]
	v_fma_f64 v[91:92], v[58:59], s[24:25], v[91:92]
	v_add_f64 v[87:88], v[95:96], v[87:88]
	v_add_f64 v[78:79], v[83:84], v[78:79]
	s_mov_b32 s39, 0x3fed1bb4
	s_mov_b32 s38, s16
	v_fma_f64 v[95:96], v[58:59], s[30:31], v[93:94]
	v_fma_f64 v[105:106], v[64:65], s[16:17], v[99:100]
	v_add_f64 v[97:98], v[101:102], v[97:98]
	v_fma_f64 v[99:100], v[64:65], s[38:39], v[99:100]
	v_add_f64 v[87:88], v[103:104], v[87:88]
	v_add_f64 v[78:79], v[91:92], v[78:79]
	v_mul_f64 v[91:92], v[70:71], s[6:7]
	s_mov_b32 s41, 0x3fefac9e
	s_mov_b32 s40, s20
	v_mul_f64 v[83:84], v[66:67], s[22:23]
	v_add_f64 v[95:96], v[95:96], v[97:98]
	v_fma_f64 v[85:86], v[48:49], s[24:25], v[85:86]
	v_add_f64 v[87:88], v[105:106], v[87:88]
	v_add_f64 v[78:79], v[99:100], v[78:79]
	v_fma_f64 v[97:98], v[62:63], s[40:41], v[91:92]
	v_fma_f64 v[91:92], v[62:63], s[20:21], v[91:92]
	v_mul_f64 v[99:100], v[44:45], s[6:7]
	v_fma_f64 v[101:102], v[64:65], s[36:37], v[83:84]
	v_add_f64 v[103:104], v[40:41], v[8:9]
	v_fma_f64 v[89:90], v[52:53], s[40:41], v[89:90]
	v_add_f64 v[85:86], v[8:9], v[85:86]
	v_mul_f64 v[109:110], v[56:57], s[4:5]
	v_add_f64 v[87:88], v[97:98], v[87:88]
	v_add_f64 v[78:79], v[91:92], v[78:79]
	v_fma_f64 v[91:92], v[48:49], s[40:41], v[99:100]
	v_mul_f64 v[97:98], v[50:51], s[22:23]
	v_add_f64 v[95:96], v[101:102], v[95:96]
	v_mul_f64 v[101:102], v[44:45], s[4:5]
	v_add_f64 v[103:104], v[36:37], v[103:104]
	v_add_f64 v[85:86], v[89:90], v[85:86]
	v_fma_f64 v[89:90], v[58:59], s[10:11], v[93:94]
	v_fma_f64 v[93:94], v[48:49], s[20:21], v[99:100]
	v_add_f64 v[91:92], v[8:9], v[91:92]
	v_fma_f64 v[107:108], v[52:53], s[26:27], v[97:98]
	v_mul_f64 v[105:106], v[50:51], s[18:19]
	v_fma_f64 v[99:100], v[48:49], s[38:39], v[101:102]
	v_fma_f64 v[48:49], v[48:49], s[16:17], v[101:102]
	v_add_f64 v[101:102], v[32:33], v[103:104]
	v_add_f64 v[85:86], v[89:90], v[85:86]
	v_mul_f64 v[44:45], v[44:45], s[2:3]
	v_fma_f64 v[97:98], v[52:53], s[36:37], v[97:98]
	v_add_f64 v[91:92], v[107:108], v[91:92]
	v_fma_f64 v[107:108], v[58:59], s[16:17], v[109:110]
	v_add_f64 v[93:94], v[8:9], v[93:94]
	v_add_f64 v[99:100], v[8:9], v[99:100]
	v_fma_f64 v[111:112], v[52:53], s[34:35], v[105:106]
	v_mul_f64 v[113:114], v[56:57], s[22:23]
	v_mul_f64 v[50:51], v[50:51], s[4:5]
	v_add_f64 v[44:45], v[46:47], v[44:45]
	v_fma_f64 v[52:53], v[52:53], s[24:25], v[105:106]
	v_add_f64 v[89:90], v[107:108], v[91:92]
	v_add_f64 v[91:92], v[28:29], v[101:102]
	;; [unrolled: 1-line block ×3, first 2 shown]
	v_fma_f64 v[97:98], v[58:59], s[38:39], v[109:110]
	v_add_f64 v[99:100], v[111:112], v[99:100]
	v_fma_f64 v[103:104], v[58:59], s[26:27], v[113:114]
	v_add_f64 v[48:49], v[8:9], v[48:49]
	v_mul_f64 v[56:57], v[56:57], s[6:7]
	v_add_f64 v[50:51], v[54:55], v[50:51]
	v_add_f64 v[46:47], v[24:25], v[91:92]
	;; [unrolled: 1-line block ×4, first 2 shown]
	v_fma_f64 v[58:59], v[58:59], s[36:37], v[113:114]
	v_add_f64 v[97:98], v[103:104], v[99:100]
	v_mul_f64 v[99:100], v[66:67], s[2:3]
	v_add_f64 v[48:49], v[52:53], v[48:49]
	v_fma_f64 v[52:53], v[64:65], s[26:27], v[83:84]
	v_add_f64 v[44:45], v[20:21], v[46:47]
	v_mul_f64 v[83:84], v[66:67], s[6:7]
	v_mul_f64 v[66:67], v[66:67], s[18:19]
	v_add_f64 v[56:57], v[60:61], v[56:57]
	v_add_f64 v[8:9], v[50:51], v[8:9]
	v_fma_f64 v[91:92], v[64:65], s[30:31], v[99:100]
	v_fma_f64 v[99:100], v[64:65], s[10:11], v[99:100]
	v_add_f64 v[48:49], v[58:59], v[48:49]
	v_add_f64 v[44:45], v[16:17], v[44:45]
	v_fma_f64 v[54:55], v[64:65], s[20:21], v[83:84]
	v_fma_f64 v[64:65], v[64:65], s[40:41], v[83:84]
	v_add_f64 v[60:61], v[68:69], v[66:67]
	v_mul_f64 v[66:67], v[70:71], s[22:23]
	v_add_f64 v[8:9], v[56:57], v[8:9]
	v_mul_f64 v[68:69], v[70:71], s[18:19]
	v_mul_f64 v[56:57], v[70:71], s[2:3]
	v_add_f64 v[44:45], v[12:13], v[44:45]
	v_mul_f64 v[46:47], v[70:71], s[4:5]
	v_add_f64 v[48:49], v[64:65], v[48:49]
	v_add_f64 v[70:71], v[99:100], v[93:94]
	;; [unrolled: 1-line block ×4, first 2 shown]
	v_fma_f64 v[66:67], v[62:63], s[24:25], v[68:69]
	v_fma_f64 v[60:61], v[62:63], s[30:31], v[56:57]
	v_add_f64 v[44:45], v[4:5], v[44:45]
	v_fma_f64 v[50:51], v[62:63], s[16:17], v[46:47]
	v_add_f64 v[52:53], v[52:53], v[85:86]
	;; [unrolled: 2-line block ×3, first 2 shown]
	v_add_f64 v[54:55], v[54:55], v[97:98]
	v_fma_f64 v[68:69], v[62:63], s[34:35], v[68:69]
	v_fma_f64 v[56:57], v[62:63], s[10:11], v[56:57]
	v_add_f64 v[8:9], v[64:65], v[8:9]
	v_add_f64 v[44:45], v[0:1], v[44:45]
	;; [unrolled: 1-line block ×8, first 2 shown]
	s_movk_i32 s30, 0x58
	v_mad_u32_u24 v56, v72, s30, 0
	ds_write2_b64 v56, v[44:45], v[8:9] offset1:1
	ds_write2_b64 v56, v[48:49], v[62:63] offset0:2 offset1:3
	ds_write2_b64 v56, v[46:47], v[78:79] offset0:4 offset1:5
	;; [unrolled: 1-line block ×4, first 2 shown]
	ds_write_b64 v56, v[81:82] offset:80
.LBB0_13:
	s_or_b64 exec, exec, s[28:29]
	v_add_f64 v[70:71], v[40:41], -v[0:1]
	v_add_f64 v[64:65], v[2:3], v[42:43]
	v_add_f64 v[68:69], v[36:37], -v[4:5]
	v_add_f64 v[40:41], v[6:7], v[38:39]
	;; [unrolled: 2-line block ×4, first 2 shown]
	v_mul_f64 v[66:67], v[70:71], s[10:11]
	v_add_f64 v[4:5], v[24:25], -v[20:21]
	v_mul_f64 v[76:77], v[68:69], s[16:17]
	v_lshl_add_u32 v87, v72, 3, 0
	v_mul_f64 v[28:29], v[36:37], s[20:21]
	v_add_u32_e32 v73, 0x1800, v87
	v_mul_f64 v[20:21], v[12:13], s[24:25]
	v_add_u32_e32 v85, 0xc00, v87
	v_fma_f64 v[0:1], v[64:65], s[2:3], v[66:67]
	v_add_u32_e32 v86, 0x3000, v87
	v_fma_f64 v[16:17], v[40:41], s[4:5], v[76:77]
	s_waitcnt lgkmcnt(0)
	v_fma_f64 v[24:25], v[32:33], s[6:7], v[28:29]
	s_barrier
	v_fma_f64 v[46:47], v[8:9], s[18:19], v[20:21]
	v_add_f64 v[0:1], v[10:11], v[0:1]
	ds_read2_b64 v[56:59], v87 offset1:198
	v_add_u32_e32 v79, 0x2400, v87
	v_add_f64 v[44:45], v[16:17], v[0:1]
	v_add_f64 v[0:1], v[22:23], v[26:27]
	v_mul_f64 v[16:17], v[4:5], s[26:27]
	v_add_f64 v[24:25], v[24:25], v[44:45]
	v_fma_f64 v[48:49], v[0:1], s[22:23], v[16:17]
	v_add_f64 v[24:25], v[46:47], v[24:25]
	ds_read2_b64 v[52:55], v73 offset0:24 offset1:222
	ds_read2_b64 v[44:47], v79 offset0:36 offset1:234
	;; [unrolled: 1-line block ×3, first 2 shown]
	v_add_f64 v[83:84], v[48:49], v[24:25]
	ds_read2_b64 v[48:51], v86 offset0:48 offset1:246
	s_waitcnt lgkmcnt(0)
	s_barrier
	s_and_saveexec_b64 s[10:11], s[0:1]
	s_cbranch_execz .LBB0_15
; %bb.14:
	v_add_f64 v[24:25], v[42:43], v[10:11]
	v_mul_f64 v[90:91], v[32:33], s[6:7]
	v_mul_f64 v[92:93], v[8:9], s[18:19]
	s_mov_b32 s6, 0x43842ef
	s_mov_b32 s18, 0xbb3a28a1
	;; [unrolled: 1-line block ×4, first 2 shown]
	v_mul_f64 v[42:43], v[64:65], s[2:3]
	v_add_f64 v[24:25], v[38:39], v[24:25]
	v_mul_f64 v[88:89], v[40:41], s[4:5]
	s_mov_b32 s5, 0xbfed1bb4
	s_mov_b32 s4, 0x8eee2c13
	s_mov_b32 s2, 0x640f44db
	s_mov_b32 s16, 0x7f775887
	s_mov_b32 s24, 0xfd768dbf
	s_mov_b32 s26, 0xf8bb580b
	v_add_f64 v[24:25], v[34:35], v[24:25]
	v_mul_f64 v[34:35], v[70:71], s[18:19]
	s_mov_b32 s3, 0xbfc2375f
	s_mov_b32 s17, 0xbfe4f49e
	;; [unrolled: 1-line block ×6, first 2 shown]
	v_add_f64 v[24:25], v[30:31], v[24:25]
	v_mul_f64 v[30:31], v[70:71], s[4:5]
	s_mov_b32 s30, s24
	s_mov_b32 s28, s6
	v_mul_f64 v[38:39], v[70:71], s[24:25]
	v_mul_f64 v[96:97], v[68:69], s[26:27]
	v_add_f64 v[42:43], v[42:43], -v[66:67]
	v_add_f64 v[66:67], v[88:89], -v[76:77]
	v_add_f64 v[24:25], v[26:27], v[24:25]
	v_mul_f64 v[26:27], v[70:71], s[6:7]
	v_mul_f64 v[70:71], v[68:69], s[18:19]
	s_mov_b32 s0, 0xd9c712b6
	s_mov_b32 s1, 0x3fda9628
	v_fma_f64 v[76:77], v[64:65], s[0:1], -v[30:31]
	v_fma_f64 v[30:31], v[64:65], s[0:1], v[30:31]
	v_fma_f64 v[98:99], v[64:65], s[22:23], -v[38:39]
	v_add_f64 v[22:23], v[22:23], v[24:25]
	v_mul_f64 v[24:25], v[68:69], s[30:31]
	v_mul_f64 v[68:69], v[68:69], s[28:29]
	v_fma_f64 v[88:89], v[64:65], s[2:3], -v[26:27]
	v_fma_f64 v[38:39], v[64:65], s[22:23], v[38:39]
	v_add_f64 v[42:43], v[10:11], v[42:43]
	v_add_f64 v[76:77], v[10:11], v[76:77]
	v_add_f64 v[28:29], v[90:91], -v[28:29]
	v_add_f64 v[18:19], v[18:19], v[22:23]
	v_fma_f64 v[22:23], v[64:65], s[2:3], v[26:27]
	v_fma_f64 v[26:27], v[64:65], s[16:17], -v[34:35]
	v_fma_f64 v[34:35], v[64:65], s[16:17], v[34:35]
	v_fma_f64 v[100:101], v[40:41], s[22:23], -v[24:25]
	;; [unrolled: 2-line block ×3, first 2 shown]
	v_fma_f64 v[68:69], v[40:41], s[2:3], v[68:69]
	v_add_f64 v[14:15], v[14:15], v[18:19]
	v_add_f64 v[22:23], v[10:11], v[22:23]
	;; [unrolled: 1-line block ×4, first 2 shown]
	v_fma_f64 v[64:65], v[40:41], s[16:17], -v[70:71]
	v_fma_f64 v[70:71], v[40:41], s[16:17], v[70:71]
	s_mov_b32 s20, 0x8764f0ba
	s_mov_b32 s21, 0x3feaeb8c
	v_add_f64 v[6:7], v[6:7], v[14:15]
	v_add_f64 v[14:15], v[10:11], v[30:31]
	;; [unrolled: 1-line block ×5, first 2 shown]
	v_mul_f64 v[34:35], v[36:37], s[30:31]
	s_mov_b32 s31, 0xbfe14ced
	s_mov_b32 s30, s26
	v_add_f64 v[30:31], v[10:11], v[88:89]
	v_add_f64 v[88:89], v[10:11], v[98:99]
	;; [unrolled: 1-line block ×6, first 2 shown]
	v_mul_f64 v[64:65], v[36:37], s[30:31]
	v_add_f64 v[14:15], v[70:71], v[14:15]
	v_fma_f64 v[66:67], v[32:33], s[22:23], -v[34:35]
	v_fma_f64 v[34:35], v[32:33], s[22:23], v[34:35]
	s_mov_b32 s5, 0x3fed1bb4
	v_fma_f64 v[18:19], v[40:41], s[20:21], -v[96:97]
	v_fma_f64 v[40:41], v[40:41], s[20:21], v[96:97]
	v_mul_f64 v[42:43], v[36:37], s[4:5]
	v_mul_f64 v[36:37], v[36:37], s[18:19]
	v_add_f64 v[6:7], v[28:29], v[6:7]
	v_fma_f64 v[28:29], v[32:33], s[20:21], -v[64:65]
	v_add_f64 v[14:15], v[34:35], v[14:15]
	v_fma_f64 v[34:35], v[32:33], s[20:21], v[64:65]
	v_add_f64 v[30:31], v[100:101], v[30:31]
	v_add_f64 v[10:11], v[40:41], v[10:11]
	v_fma_f64 v[40:41], v[32:33], s[0:1], -v[42:43]
	v_fma_f64 v[42:43], v[32:33], s[0:1], v[42:43]
	v_fma_f64 v[64:65], v[32:33], s[16:17], -v[36:37]
	v_add_f64 v[24:25], v[28:29], v[24:25]
	v_fma_f64 v[28:29], v[32:33], s[16:17], v[36:37]
	v_mul_f64 v[32:33], v[12:13], s[30:31]
	v_add_f64 v[26:27], v[34:35], v[26:27]
	v_mul_f64 v[34:35], v[12:13], s[24:25]
	v_mul_f64 v[94:95], v[0:1], s[22:23]
	v_add_f64 v[30:31], v[40:41], v[30:31]
	v_add_f64 v[22:23], v[42:43], v[22:23]
	v_mul_f64 v[40:41], v[12:13], s[28:29]
	v_add_f64 v[20:21], v[92:93], -v[20:21]
	v_add_f64 v[10:11], v[28:29], v[10:11]
	v_fma_f64 v[28:29], v[8:9], s[20:21], -v[32:33]
	v_fma_f64 v[32:33], v[8:9], s[20:21], v[32:33]
	v_mul_f64 v[12:13], v[12:13], s[4:5]
	v_add_f64 v[18:19], v[18:19], v[88:89]
	v_fma_f64 v[42:43], v[8:9], s[22:23], -v[34:35]
	v_fma_f64 v[34:35], v[8:9], s[22:23], v[34:35]
	v_add_f64 v[38:39], v[66:67], v[38:39]
	v_fma_f64 v[36:37], v[8:9], s[2:3], -v[40:41]
	v_fma_f64 v[40:41], v[8:9], s[2:3], v[40:41]
	v_add_f64 v[6:7], v[20:21], v[6:7]
	v_add_f64 v[28:29], v[28:29], v[30:31]
	;; [unrolled: 1-line block ×3, first 2 shown]
	v_fma_f64 v[30:31], v[8:9], s[0:1], -v[12:13]
	v_fma_f64 v[8:9], v[8:9], s[0:1], v[12:13]
	v_add_f64 v[12:13], v[94:95], -v[16:17]
	v_mul_f64 v[16:17], v[4:5], s[26:27]
	v_mul_f64 v[32:33], v[4:5], s[18:19]
	v_add_f64 v[18:19], v[64:65], v[18:19]
	v_add_f64 v[26:27], v[34:35], v[26:27]
	v_mul_f64 v[34:35], v[4:5], s[4:5]
	v_mul_f64 v[4:5], v[4:5], s[6:7]
	v_add_f64 v[20:21], v[36:37], v[38:39]
	v_add_f64 v[14:15], v[40:41], v[14:15]
	;; [unrolled: 1-line block ×4, first 2 shown]
	v_fma_f64 v[10:11], v[0:1], s[20:21], -v[16:17]
	v_fma_f64 v[12:13], v[0:1], s[20:21], v[16:17]
	v_fma_f64 v[16:17], v[0:1], s[16:17], -v[32:33]
	v_add_f64 v[24:25], v[42:43], v[24:25]
	v_add_f64 v[18:19], v[30:31], v[18:19]
	v_fma_f64 v[30:31], v[0:1], s[0:1], -v[34:35]
	v_fma_f64 v[36:37], v[0:1], s[2:3], -v[4:5]
	v_fma_f64 v[34:35], v[0:1], s[0:1], v[34:35]
	v_fma_f64 v[4:5], v[0:1], s[2:3], v[4:5]
	;; [unrolled: 1-line block ×3, first 2 shown]
	v_add_f64 v[10:11], v[10:11], v[20:21]
	v_add_f64 v[12:13], v[12:13], v[14:15]
	;; [unrolled: 1-line block ×8, first 2 shown]
	s_movk_i32 s0, 0x50
	v_mad_u32_u24 v8, v72, s0, v87
	ds_write2_b64 v8, v[2:3], v[6:7] offset1:1
	ds_write2_b64 v8, v[10:11], v[14:15] offset0:2 offset1:3
	ds_write2_b64 v8, v[16:17], v[18:19] offset0:4 offset1:5
	;; [unrolled: 1-line block ×4, first 2 shown]
	ds_write_b64 v8, v[83:84] offset:80
.LBB0_15:
	s_or_b64 exec, exec, s[10:11]
	s_movk_i32 s0, 0x75
	v_mul_lo_u16_sdwa v0, v72, s0 dst_sel:DWORD dst_unused:UNUSED_PAD src0_sel:BYTE_0 src1_sel:DWORD
	v_sub_u16_sdwa v1, v72, v0 dst_sel:DWORD dst_unused:UNUSED_PAD src0_sel:DWORD src1_sel:BYTE_1
	v_lshrrev_b16_e32 v1, 1, v1
	v_and_b32_e32 v1, 0x7f, v1
	v_add_u16_sdwa v0, v1, v0 dst_sel:DWORD dst_unused:UNUSED_PAD src0_sel:DWORD src1_sel:BYTE_1
	v_lshrrev_b16_e32 v14, 3, v0
	v_mul_lo_u16_e32 v0, 11, v14
	v_add_u32_e32 v88, 0xc6, v72
	v_sub_u16_e32 v15, v72, v0
	v_mov_b32_e32 v0, 4
	s_mov_b32 s0, 0xba2f
	v_lshlrev_b32_sdwa v4, v0, v15 dst_sel:DWORD dst_unused:UNUSED_PAD src0_sel:DWORD src1_sel:BYTE_0
	v_mul_u32_u24_sdwa v0, v88, s0 dst_sel:DWORD dst_unused:UNUSED_PAD src0_sel:WORD_0 src1_sel:DWORD
	v_lshrrev_b32_e32 v5, 19, v0
	v_mul_lo_u16_e32 v0, 11, v5
	v_add_u32_e32 v80, 0x18c, v72
	v_sub_u16_e32 v6, v88, v0
	v_add_u32_e32 v78, 0x252, v72
	s_waitcnt lgkmcnt(0)
	s_barrier
	v_lshlrev_b32_e32 v7, 4, v6
	global_load_dwordx4 v[0:3], v4, s[8:9]
	global_load_dwordx4 v[16:19], v7, s[8:9]
	v_mul_u32_u24_sdwa v4, v80, s0 dst_sel:DWORD dst_unused:UNUSED_PAD src0_sel:WORD_0 src1_sel:DWORD
	v_lshrrev_b32_e32 v4, 19, v4
	v_mul_u32_u24_sdwa v9, v78, s0 dst_sel:DWORD dst_unused:UNUSED_PAD src0_sel:WORD_0 src1_sel:DWORD
	v_mul_lo_u16_e32 v7, 11, v4
	v_lshrrev_b32_e32 v9, 19, v9
	v_sub_u16_e32 v7, v80, v7
	v_mul_lo_u16_e32 v10, 11, v9
	v_add_u32_e32 v76, 0x318, v72
	v_lshlrev_b32_e32 v8, 4, v7
	v_sub_u16_e32 v89, v78, v10
	v_lshlrev_b32_e32 v10, 4, v89
	global_load_dwordx4 v[20:23], v8, s[8:9]
	global_load_dwordx4 v[24:27], v10, s[8:9]
	v_mul_u32_u24_sdwa v8, v76, s0 dst_sel:DWORD dst_unused:UNUSED_PAD src0_sel:WORD_0 src1_sel:DWORD
	v_lshrrev_b32_e32 v8, 19, v8
	v_mul_lo_u16_e32 v10, 11, v8
	v_sub_u16_e32 v90, v76, v10
	v_lshlrev_b32_e32 v10, 4, v90
	global_load_dwordx4 v[40:43], v10, s[8:9]
	ds_read2_b64 v[32:35], v87 offset1:198
	ds_read2_b64 v[28:31], v73 offset0:24 offset1:222
	ds_read2_b64 v[64:67], v79 offset0:36 offset1:234
	;; [unrolled: 1-line block ×4, first 2 shown]
	v_mul_u32_u24_e32 v79, 0xb0, v5
	v_mul_u32_u24_e32 v85, 0xb0, v4
	v_lshlrev_b32_e32 v93, 3, v6
	v_lshlrev_b32_e32 v94, 3, v7
	v_mul_u32_u24_e32 v86, 0xb0, v9
	v_mul_u32_u24_e32 v91, 0xb0, v8
	v_lshlrev_b32_e32 v95, 3, v89
	v_lshlrev_b32_e32 v96, 3, v90
	v_add3_u32 v89, 0, v85, v94
	v_add3_u32 v90, 0, v86, v95
	v_mov_b32_e32 v92, 3
	v_add3_u32 v79, 0, v79, v93
	v_mul_u32_u24_e32 v93, 0xb0, v14
	v_lshlrev_b32_sdwa v92, v92, v15 dst_sel:DWORD dst_unused:UNUSED_PAD src0_sel:DWORD src1_sel:BYTE_0
	v_add_u32_e32 v73, 0x1400, v87
	v_add_u32_e32 v77, 0x2800, v87
	v_add3_u32 v91, 0, v91, v96
	s_waitcnt vmcnt(0) lgkmcnt(0)
	s_barrier
	s_movk_i32 s0, 0x42
	v_cmp_gt_u32_e64 s[0:1], s0, v72
	v_mul_f64 v[4:5], v[30:31], v[2:3]
	v_mul_f64 v[6:7], v[64:65], v[18:19]
	v_fma_f64 v[4:5], v[54:55], v[0:1], v[4:5]
	v_fma_f64 v[6:7], v[44:45], v[16:17], v[6:7]
	v_mul_f64 v[8:9], v[66:67], v[22:23]
	v_mul_f64 v[10:11], v[68:69], v[26:27]
	v_add_f64 v[4:5], v[56:57], -v[4:5]
	v_add_f64 v[6:7], v[58:59], -v[6:7]
	v_mul_f64 v[12:13], v[70:71], v[42:43]
	v_fma_f64 v[8:9], v[46:47], v[20:21], v[8:9]
	v_fma_f64 v[10:11], v[48:49], v[24:25], v[10:11]
	v_fma_f64 v[14:15], v[58:59], 2.0, -v[6:7]
	v_fma_f64 v[12:13], v[50:51], v[40:41], v[12:13]
	v_add_f64 v[8:9], v[60:61], -v[8:9]
	v_add_f64 v[10:11], v[62:63], -v[10:11]
	;; [unrolled: 1-line block ×3, first 2 shown]
	v_fma_f64 v[12:13], v[56:57], 2.0, -v[4:5]
	v_fma_f64 v[56:57], v[60:61], 2.0, -v[8:9]
	v_fma_f64 v[58:59], v[62:63], 2.0, -v[10:11]
	v_add3_u32 v62, 0, v93, v92
                                        ; implicit-def: $vgpr60_vgpr61
	v_fma_f64 v[52:53], v[52:53], 2.0, -v[85:86]
	ds_write2_b64 v62, v[12:13], v[4:5] offset1:11
	ds_write2_b64 v79, v[14:15], v[6:7] offset1:11
	;; [unrolled: 1-line block ×5, first 2 shown]
	s_waitcnt lgkmcnt(0)
	s_barrier
	ds_read2_b64 v[4:7], v87 offset1:198
	ds_read2_b64 v[8:11], v73 offset0:20 offset1:218
	ds_read2_b64 v[12:15], v77 offset0:40 offset1:238
	ds_read_b64 v[52:53], v87 offset:3168
	ds_read_b64 v[58:59], v87 offset:8448
	;; [unrolled: 1-line block ×3, first 2 shown]
	s_and_saveexec_b64 s[2:3], s[0:1]
	s_cbranch_execz .LBB0_17
; %bb.16:
	ds_read_b64 v[85:86], v87 offset:4752
	ds_read_b64 v[81:82], v87 offset:10032
	;; [unrolled: 1-line block ×3, first 2 shown]
.LBB0_17:
	s_or_b64 exec, exec, s[2:3]
	v_mul_f64 v[2:3], v[54:55], v[2:3]
	v_mul_f64 v[18:19], v[44:45], v[18:19]
	;; [unrolled: 1-line block ×5, first 2 shown]
	s_waitcnt lgkmcnt(0)
	s_barrier
	v_fma_f64 v[0:1], v[30:31], v[0:1], -v[2:3]
	v_fma_f64 v[2:3], v[64:65], v[16:17], -v[18:19]
	;; [unrolled: 1-line block ×5, first 2 shown]
	v_add_f64 v[0:1], v[32:33], -v[0:1]
	v_add_f64 v[2:3], v[34:35], -v[2:3]
	;; [unrolled: 1-line block ×5, first 2 shown]
	v_fma_f64 v[20:21], v[32:33], 2.0, -v[0:1]
	v_fma_f64 v[22:23], v[34:35], 2.0, -v[2:3]
	;; [unrolled: 1-line block ×5, first 2 shown]
	ds_write2_b64 v62, v[20:21], v[0:1] offset1:11
	ds_write2_b64 v79, v[22:23], v[2:3] offset1:11
	;; [unrolled: 1-line block ×5, first 2 shown]
	s_waitcnt lgkmcnt(0)
	s_barrier
	ds_read2_b64 v[0:3], v87 offset1:198
	ds_read2_b64 v[16:19], v73 offset0:20 offset1:218
	ds_read2_b64 v[20:23], v77 offset0:40 offset1:238
	ds_read_b64 v[30:31], v87 offset:3168
	ds_read_b64 v[32:33], v87 offset:8448
	;; [unrolled: 1-line block ×3, first 2 shown]
                                        ; implicit-def: $vgpr24_vgpr25
	s_and_saveexec_b64 s[2:3], s[0:1]
	s_cbranch_execz .LBB0_19
; %bb.18:
	ds_read_b64 v[26:27], v87 offset:4752
	ds_read_b64 v[83:84], v87 offset:10032
	;; [unrolled: 1-line block ×3, first 2 shown]
.LBB0_19:
	s_or_b64 exec, exec, s[2:3]
	v_lshrrev_b16_e32 v34, 1, v72
	v_and_b32_e32 v34, 0x7f, v34
	v_mul_lo_u16_e32 v34, 0xbb, v34
	s_mov_b32 s2, 0xba2f
	v_lshrrev_b16_e32 v42, 11, v34
	v_mul_u32_u24_sdwa v34, v88, s2 dst_sel:DWORD dst_unused:UNUSED_PAD src0_sel:WORD_0 src1_sel:DWORD
	v_lshrrev_b32_e32 v54, 20, v34
	v_mul_lo_u16_e32 v34, 22, v54
	v_sub_u16_e32 v55, v88, v34
	v_lshlrev_b32_e32 v44, 5, v55
	global_load_dwordx4 v[34:37], v44, s[8:9] offset:192
	global_load_dwordx4 v[38:41], v44, s[8:9] offset:176
	v_mul_u32_u24_sdwa v44, v80, s2 dst_sel:DWORD dst_unused:UNUSED_PAD src0_sel:WORD_0 src1_sel:DWORD
	v_lshrrev_b32_e32 v62, 20, v44
	v_mul_lo_u16_e32 v44, 22, v62
	v_sub_u16_e32 v63, v80, v44
	v_lshlrev_b32_e32 v64, 5, v63
	global_load_dwordx4 v[44:47], v64, s[8:9] offset:192
	global_load_dwordx4 v[48:51], v64, s[8:9] offset:176
	v_mul_u32_u24_sdwa v64, v78, s2 dst_sel:DWORD dst_unused:UNUSED_PAD src0_sel:WORD_0 src1_sel:DWORD
	v_lshrrev_b32_e32 v68, 20, v64
	v_mul_lo_u16_e32 v64, 22, v68
	v_sub_u16_e32 v73, v78, v64
	v_mul_lo_u16_e32 v43, 22, v42
	v_lshlrev_b32_e32 v64, 5, v73
	global_load_dwordx4 v[89:92], v64, s[8:9] offset:192
	global_load_dwordx4 v[93:96], v64, s[8:9] offset:176
	v_sub_u16_e32 v43, v72, v43
	v_mov_b32_e32 v64, 5
	v_lshlrev_b32_sdwa v64, v64, v43 dst_sel:DWORD dst_unused:UNUSED_PAD src0_sel:DWORD src1_sel:BYTE_0
	global_load_dwordx4 v[97:100], v64, s[8:9] offset:176
	global_load_dwordx4 v[101:104], v64, s[8:9] offset:192
	v_mov_b32_e32 v64, 3
	v_mul_u32_u24_e32 v54, 0x210, v54
	v_mul_u32_u24_e32 v42, 0x210, v42
	v_lshlrev_b32_e32 v55, 3, v55
	v_lshlrev_b32_sdwa v43, v64, v43 dst_sel:DWORD dst_unused:UNUSED_PAD src0_sel:DWORD src1_sel:BYTE_0
	v_add3_u32 v70, 0, v54, v55
	v_add3_u32 v71, 0, v42, v43
	v_mul_u32_u24_e32 v62, 0x210, v62
	v_lshlrev_b32_e32 v63, 3, v63
	v_add3_u32 v69, 0, v62, v63
	s_mov_b32 s2, 0xe8584caa
	s_mov_b32 s3, 0xbfebb67a
	;; [unrolled: 1-line block ×4, first 2 shown]
	s_waitcnt vmcnt(0) lgkmcnt(0)
	s_barrier
	v_mul_f64 v[54:55], v[22:23], v[36:37]
	v_mul_f64 v[42:43], v[18:19], v[40:41]
	;; [unrolled: 1-line block ×8, first 2 shown]
	v_fma_f64 v[62:63], v[10:11], v[38:39], v[42:43]
	v_fma_f64 v[66:67], v[18:19], v[38:39], -v[40:41]
	v_fma_f64 v[64:65], v[14:15], v[34:35], v[54:55]
	v_mul_f64 v[113:114], v[24:25], v[91:92]
	v_mul_f64 v[111:112], v[83:84], v[95:96]
	;; [unrolled: 1-line block ×8, first 2 shown]
	v_fma_f64 v[18:19], v[22:23], v[34:35], -v[36:37]
	v_fma_f64 v[42:43], v[58:59], v[48:49], v[105:106]
	v_fma_f64 v[48:49], v[32:33], v[48:49], -v[50:51]
	v_fma_f64 v[46:47], v[56:57], v[44:45], v[107:108]
	;; [unrolled: 2-line block ×3, first 2 shown]
	v_fma_f64 v[50:51], v[60:61], v[89:90], v[113:114]
	v_fma_f64 v[56:57], v[8:9], v[97:98], v[115:116]
	;; [unrolled: 1-line block ×3, first 2 shown]
	v_fma_f64 v[54:55], v[83:84], v[93:94], -v[95:96]
	v_fma_f64 v[40:41], v[24:25], v[89:90], -v[91:92]
	v_fma_f64 v[60:61], v[16:17], v[97:98], -v[99:100]
	v_fma_f64 v[16:17], v[20:21], v[101:102], -v[103:104]
	v_add_f64 v[10:11], v[62:63], v[64:65]
	v_add_f64 v[14:15], v[52:53], v[42:43]
	;; [unrolled: 1-line block ×6, first 2 shown]
	v_add_f64 v[12:13], v[66:67], -v[18:19]
	v_add_f64 v[28:29], v[48:49], -v[22:23]
	v_add_f64 v[32:33], v[85:86], v[44:45]
	v_add_f64 v[36:37], v[54:55], -v[40:41]
	v_add_f64 v[38:39], v[4:5], v[56:57]
	v_add_f64 v[81:82], v[60:61], -v[16:17]
	v_fma_f64 v[4:5], v[20:21], -0.5, v[4:5]
	v_fma_f64 v[6:7], v[10:11], -0.5, v[6:7]
	v_add_f64 v[10:11], v[14:15], v[46:47]
	v_fma_f64 v[14:15], v[24:25], -0.5, v[52:53]
	v_fma_f64 v[20:21], v[34:35], -0.5, v[85:86]
	v_add_f64 v[24:25], v[32:33], v[50:51]
	v_add_f64 v[34:35], v[38:39], v[58:59]
	;; [unrolled: 1-line block ×3, first 2 shown]
	v_fma_f64 v[38:39], v[81:82], s[2:3], v[4:5]
	v_fma_f64 v[52:53], v[12:13], s[2:3], v[6:7]
	;; [unrolled: 1-line block ×8, first 2 shown]
	v_lshlrev_b32_e32 v20, 3, v73
	ds_write2_b64 v71, v[34:35], v[38:39] offset1:22
	ds_write_b64 v71, v[4:5] offset:352
	ds_write2_b64 v70, v[8:9], v[52:53] offset1:22
	ds_write_b64 v70, v[6:7] offset:352
	;; [unrolled: 2-line block ×3, first 2 shown]
	s_and_saveexec_b64 s[2:3], s[0:1]
	s_cbranch_execz .LBB0_21
; %bb.20:
	v_mul_lo_u16_e32 v4, 0x42, v68
	v_lshlrev_b32_e32 v4, 3, v4
	v_add3_u32 v4, 0, v20, v4
	ds_write2_b64 v4, v[24:25], v[32:33] offset1:22
	ds_write_b64 v4, v[28:29] offset:352
.LBB0_21:
	s_or_b64 exec, exec, s[2:3]
	v_add_u32_e32 v8, 0x1400, v87
	v_add_u32_e32 v12, 0x2800, v87
	s_waitcnt lgkmcnt(0)
	s_barrier
	ds_read2_b64 v[4:7], v87 offset1:198
	ds_read2_b64 v[8:11], v8 offset0:20 offset1:218
	ds_read2_b64 v[12:15], v12 offset0:40 offset1:238
	ds_read_b64 v[34:35], v87 offset:3168
	ds_read_b64 v[36:37], v87 offset:8448
	;; [unrolled: 1-line block ×3, first 2 shown]
	s_and_saveexec_b64 s[2:3], s[0:1]
	s_cbranch_execz .LBB0_23
; %bb.22:
	ds_read_b64 v[24:25], v87 offset:4752
	ds_read_b64 v[32:33], v87 offset:10032
	ds_read_b64 v[28:29], v87 offset:15312
.LBB0_23:
	s_or_b64 exec, exec, s[2:3]
	v_add_f64 v[52:53], v[60:61], v[16:17]
	v_add_f64 v[60:61], v[0:1], v[60:61]
	v_add_f64 v[56:57], v[56:57], -v[58:59]
	v_add_f64 v[58:59], v[66:67], v[18:19]
	v_add_f64 v[62:63], v[62:63], -v[64:65]
	v_add_f64 v[64:65], v[48:49], v[22:23]
	v_add_f64 v[48:49], v[30:31], v[48:49]
	v_add_f64 v[42:43], v[42:43], -v[46:47]
	v_fma_f64 v[0:1], v[52:53], -0.5, v[0:1]
	v_add_f64 v[52:53], v[2:3], v[66:67]
	v_add_f64 v[66:67], v[54:55], v[40:41]
	;; [unrolled: 1-line block ×3, first 2 shown]
	v_add_f64 v[44:45], v[44:45], -v[50:51]
	v_fma_f64 v[30:31], v[64:65], -0.5, v[30:31]
	v_fma_f64 v[2:3], v[58:59], -0.5, v[2:3]
	s_mov_b32 s2, 0xe8584caa
	s_mov_b32 s3, 0x3febb67a
	;; [unrolled: 1-line block ×3, first 2 shown]
	v_fma_f64 v[54:55], v[66:67], -0.5, v[26:27]
	s_mov_b32 s4, s2
	v_add_f64 v[16:17], v[60:61], v[16:17]
	v_fma_f64 v[58:59], v[56:57], s[2:3], v[0:1]
	v_add_f64 v[21:22], v[48:49], v[22:23]
	v_fma_f64 v[48:49], v[42:43], s[2:3], v[30:31]
	v_fma_f64 v[30:31], v[42:43], s[4:5], v[30:31]
	v_add_f64 v[26:27], v[46:47], v[40:41]
	v_fma_f64 v[42:43], v[44:45], s[2:3], v[54:55]
	v_fma_f64 v[40:41], v[44:45], s[4:5], v[54:55]
	;; [unrolled: 1-line block ×3, first 2 shown]
	v_add_f64 v[18:19], v[52:53], v[18:19]
	v_fma_f64 v[50:51], v[62:63], s[2:3], v[2:3]
	v_fma_f64 v[2:3], v[62:63], s[4:5], v[2:3]
	s_waitcnt lgkmcnt(0)
	s_barrier
	ds_write2_b64 v71, v[16:17], v[58:59] offset1:22
	ds_write_b64 v71, v[0:1] offset:352
	ds_write2_b64 v70, v[18:19], v[50:51] offset1:22
	ds_write_b64 v70, v[2:3] offset:352
	;; [unrolled: 2-line block ×3, first 2 shown]
	s_and_saveexec_b64 s[2:3], s[0:1]
	s_cbranch_execz .LBB0_25
; %bb.24:
	v_mul_lo_u16_e32 v0, 0x42, v68
	v_lshlrev_b32_e32 v0, 3, v0
	v_add3_u32 v0, 0, v20, v0
	ds_write2_b64 v0, v[26:27], v[42:43] offset1:22
	ds_write_b64 v0, v[40:41] offset:352
.LBB0_25:
	s_or_b64 exec, exec, s[2:3]
	v_add_u32_e32 v16, 0x1400, v87
	v_add_u32_e32 v20, 0x2800, v87
	s_waitcnt lgkmcnt(0)
	s_barrier
	ds_read2_b64 v[0:3], v87 offset1:198
	ds_read2_b64 v[16:19], v16 offset0:20 offset1:218
	ds_read2_b64 v[20:23], v20 offset0:40 offset1:238
	ds_read_b64 v[30:31], v87 offset:3168
	ds_read_b64 v[44:45], v87 offset:8448
	ds_read_b64 v[46:47], v87 offset:13728
	s_and_saveexec_b64 s[2:3], s[0:1]
	s_cbranch_execz .LBB0_27
; %bb.26:
	ds_read_b64 v[26:27], v87 offset:4752
	ds_read_b64 v[42:43], v87 offset:10032
	;; [unrolled: 1-line block ×3, first 2 shown]
.LBB0_27:
	s_or_b64 exec, exec, s[2:3]
	s_movk_i32 s2, 0xf9
	v_mul_lo_u16_sdwa v48, v72, s2 dst_sel:DWORD dst_unused:UNUSED_PAD src0_sel:BYTE_0 src1_sel:DWORD
	v_lshrrev_b16_e32 v48, 14, v48
	v_mul_lo_u16_e32 v49, 0x42, v48
	v_sub_u16_e32 v49, v72, v49
	v_mov_b32_e32 v50, 5
	v_lshlrev_b32_sdwa v50, v50, v49 dst_sel:DWORD dst_unused:UNUSED_PAD src0_sel:DWORD src1_sel:BYTE_0
	s_mov_b32 s2, 0xf83f
	global_load_dwordx4 v[52:55], v50, s[8:9] offset:896
	global_load_dwordx4 v[61:64], v50, s[8:9] offset:880
	v_mul_u32_u24_sdwa v50, v88, s2 dst_sel:DWORD dst_unused:UNUSED_PAD src0_sel:WORD_0 src1_sel:DWORD
	v_lshrrev_b32_e32 v50, 22, v50
	v_mul_lo_u16_e32 v51, 0x42, v50
	v_sub_u16_e32 v51, v88, v51
	v_lshlrev_b32_e32 v56, 5, v51
	global_load_dwordx4 v[65:68], v56, s[8:9] offset:896
	global_load_dwordx4 v[81:84], v56, s[8:9] offset:880
	v_mul_u32_u24_sdwa v56, v80, s2 dst_sel:DWORD dst_unused:UNUSED_PAD src0_sel:WORD_0 src1_sel:DWORD
	v_lshrrev_b32_e32 v56, 22, v56
	v_mul_lo_u16_e32 v57, 0x42, v56
	v_sub_u16_e32 v57, v80, v57
	v_lshlrev_b32_e32 v58, 5, v57
	;; [unrolled: 7-line block ×3, first 2 shown]
	global_load_dwordx4 v[97:100], v58, s[8:9] offset:880
	global_load_dwordx4 v[101:104], v58, s[8:9] offset:896
	v_mov_b32_e32 v58, 3
	v_mul_u32_u24_e32 v48, 0x630, v48
	v_mul_u32_u24_e32 v50, 0x630, v50
	v_lshlrev_b32_sdwa v49, v58, v49 dst_sel:DWORD dst_unused:UNUSED_PAD src0_sel:DWORD src1_sel:BYTE_0
	v_lshlrev_b32_e32 v51, 3, v51
	v_add3_u32 v60, 0, v48, v49
	v_add3_u32 v59, 0, v50, v51
	v_mul_u32_u24_e32 v56, 0x630, v56
	v_lshlrev_b32_e32 v57, 3, v57
	v_add3_u32 v58, 0, v56, v57
	s_mov_b32 s2, 0xe8584caa
	s_mov_b32 s3, 0xbfebb67a
	;; [unrolled: 1-line block ×4, first 2 shown]
	s_waitcnt vmcnt(0) lgkmcnt(0)
	s_barrier
	v_mul_f64 v[48:49], v[16:17], v[63:64]
	v_mul_f64 v[50:51], v[8:9], v[63:64]
	;; [unrolled: 1-line block ×7, first 2 shown]
	v_fma_f64 v[48:49], v[8:9], v[61:62], v[48:49]
	v_fma_f64 v[56:57], v[16:17], v[61:62], -v[50:51]
	v_fma_f64 v[50:51], v[12:13], v[52:53], v[63:64]
	v_mul_f64 v[107:108], v[46:47], v[91:92]
	v_mul_f64 v[105:106], v[44:45], v[95:96]
	;; [unrolled: 1-line block ×3, first 2 shown]
	v_fma_f64 v[8:9], v[20:21], v[52:53], -v[54:55]
	v_fma_f64 v[16:17], v[10:11], v[81:82], v[69:70]
	v_fma_f64 v[52:53], v[14:15], v[65:66], v[85:86]
	v_mul_f64 v[109:110], v[42:43], v[99:100]
	v_mul_f64 v[95:96], v[36:37], v[95:96]
	;; [unrolled: 1-line block ×3, first 2 shown]
	v_fma_f64 v[54:55], v[18:19], v[81:82], -v[83:84]
	v_fma_f64 v[14:15], v[36:37], v[93:94], v[105:106]
	v_fma_f64 v[18:19], v[38:39], v[89:90], v[107:108]
	v_mul_f64 v[99:100], v[32:33], v[99:100]
	v_fma_f64 v[12:13], v[22:23], v[65:66], -v[67:68]
	v_fma_f64 v[20:21], v[32:33], v[97:98], v[109:110]
	v_add_f64 v[32:33], v[48:49], v[50:51]
	v_add_f64 v[38:39], v[16:17], v[52:53]
	v_fma_f64 v[36:37], v[44:45], v[93:94], -v[95:96]
	v_fma_f64 v[10:11], v[46:47], v[89:90], -v[91:92]
	v_add_f64 v[44:45], v[14:15], v[18:19]
	v_fma_f64 v[22:23], v[42:43], v[97:98], -v[99:100]
	v_add_f64 v[42:43], v[4:5], v[48:49]
	v_add_f64 v[46:47], v[56:57], -v[8:9]
	v_add_f64 v[61:62], v[6:7], v[16:17]
	v_add_f64 v[63:64], v[34:35], v[14:15]
	v_fma_f64 v[4:5], v[32:33], -0.5, v[4:5]
	v_mul_f64 v[111:112], v[40:41], v[103:104]
	v_mul_f64 v[103:104], v[28:29], v[103:104]
	v_add_f64 v[32:33], v[54:55], -v[12:13]
	v_fma_f64 v[6:7], v[38:39], -0.5, v[6:7]
	v_add_f64 v[38:39], v[36:37], -v[10:11]
	v_fma_f64 v[34:35], v[44:45], -0.5, v[34:35]
	v_add_f64 v[42:43], v[42:43], v[50:51]
	v_add_f64 v[44:45], v[61:62], v[52:53]
	;; [unrolled: 1-line block ×3, first 2 shown]
	v_fma_f64 v[63:64], v[46:47], s[2:3], v[4:5]
	v_fma_f64 v[4:5], v[46:47], s[4:5], v[4:5]
	;; [unrolled: 1-line block ×5, first 2 shown]
	v_fma_f64 v[28:29], v[40:41], v[101:102], -v[103:104]
	v_fma_f64 v[65:66], v[38:39], s[2:3], v[34:35]
	v_fma_f64 v[34:35], v[38:39], s[4:5], v[34:35]
	ds_write2_b64 v60, v[42:43], v[63:64] offset1:66
	ds_write_b64 v60, v[4:5] offset:1056
	ds_write2_b64 v59, v[44:45], v[46:47] offset1:66
	ds_write_b64 v59, v[6:7] offset:1056
	;; [unrolled: 2-line block ×3, first 2 shown]
	v_lshl_add_u32 v34, v71, 3, 0
	s_and_saveexec_b64 s[6:7], s[0:1]
	s_cbranch_execz .LBB0_29
; %bb.28:
	v_add_f64 v[4:5], v[20:21], v[32:33]
	v_add_f64 v[6:7], v[22:23], -v[28:29]
	v_add_f64 v[38:39], v[24:25], v[20:21]
	v_fma_f64 v[4:5], v[4:5], -0.5, v[24:25]
	v_add_f64 v[24:25], v[38:39], v[32:33]
	v_fma_f64 v[38:39], v[6:7], s[2:3], v[4:5]
	v_fma_f64 v[4:5], v[6:7], s[4:5], v[4:5]
	v_add_u32_e32 v6, 0x3400, v34
	ds_write2_b64 v6, v[24:25], v[38:39] offset0:118 offset1:184
	ds_write_b64 v34, v[4:5] offset:15312
.LBB0_29:
	s_or_b64 exec, exec, s[6:7]
	v_add_f64 v[4:5], v[56:57], v[8:9]
	v_add_f64 v[6:7], v[54:55], v[12:13]
	;; [unrolled: 1-line block ×4, first 2 shown]
	v_add_f64 v[40:41], v[48:49], -v[50:51]
	v_add_f64 v[42:43], v[2:3], v[54:55]
	v_add_f64 v[14:15], v[14:15], -v[18:19]
	s_waitcnt lgkmcnt(0)
	v_fma_f64 v[0:1], v[4:5], -0.5, v[0:1]
	v_add_f64 v[4:5], v[16:17], -v[52:53]
	v_fma_f64 v[2:3], v[6:7], -0.5, v[2:3]
	v_add_f64 v[6:7], v[30:31], v[36:37]
	v_fma_f64 v[16:17], v[38:39], -0.5, v[30:31]
	v_add_f64 v[35:36], v[24:25], v[8:9]
	v_add_f64 v[37:38], v[42:43], v[12:13]
	v_add_u32_e32 v24, 0xc00, v87
	v_fma_f64 v[42:43], v[40:41], s[4:5], v[0:1]
	v_fma_f64 v[39:40], v[40:41], s[2:3], v[0:1]
	;; [unrolled: 1-line block ×3, first 2 shown]
	v_add_u32_e32 v25, 0x1800, v87
	v_add_u32_e32 v30, 0x2400, v87
	;; [unrolled: 1-line block ×3, first 2 shown]
	v_fma_f64 v[46:47], v[4:5], s[2:3], v[2:3]
	v_add_f64 v[48:49], v[6:7], v[10:11]
	v_fma_f64 v[50:51], v[14:15], s[4:5], v[16:17]
	v_fma_f64 v[52:53], v[14:15], s[2:3], v[16:17]
	s_barrier
	ds_read2_b64 v[0:3], v87 offset1:198
	ds_read2_b64 v[4:7], v24 offset0:12 offset1:210
	ds_read2_b64 v[8:11], v25 offset0:24 offset1:222
	ds_read2_b64 v[12:15], v30 offset0:36 offset1:234
	ds_read2_b64 v[16:19], v31 offset0:48 offset1:246
	s_waitcnt lgkmcnt(0)
	s_barrier
	ds_write2_b64 v60, v[35:36], v[42:43] offset1:66
	ds_write_b64 v60, v[39:40] offset:1056
	ds_write2_b64 v59, v[37:38], v[44:45] offset1:66
	ds_write_b64 v59, v[46:47] offset:1056
	ds_write2_b64 v58, v[48:49], v[50:51] offset1:66
	ds_write_b64 v58, v[52:53] offset:1056
	s_and_saveexec_b64 s[2:3], s[0:1]
	s_cbranch_execz .LBB0_31
; %bb.30:
	v_add_f64 v[35:36], v[22:23], v[28:29]
	v_add_f64 v[22:23], v[26:27], v[22:23]
	v_add_f64 v[20:21], v[20:21], -v[32:33]
	s_mov_b32 s1, 0x3febb67a
	s_mov_b32 s0, 0xe8584caa
	v_fma_f64 v[26:27], v[35:36], -0.5, v[26:27]
	v_add_f64 v[22:23], v[22:23], v[28:29]
	v_fma_f64 v[28:29], v[20:21], s[0:1], v[26:27]
	s_mov_b32 s1, 0xbfebb67a
	v_fma_f64 v[20:21], v[20:21], s[0:1], v[26:27]
	v_add_u32_e32 v26, 0x3400, v34
	ds_write2_b64 v26, v[22:23], v[28:29] offset0:118 offset1:184
	ds_write_b64 v34, v[20:21] offset:15312
.LBB0_31:
	s_or_b64 exec, exec, s[2:3]
	v_lshlrev_b32_e32 v20, 2, v72
	v_mov_b32_e32 v21, 0
	v_lshlrev_b64 v[22:23], 4, v[20:21]
	v_mov_b32_e32 v20, s9
	v_add_co_u32_e64 v22, s[0:1], s8, v22
	v_addc_co_u32_e64 v23, s[0:1], v20, v23, s[0:1]
	s_waitcnt lgkmcnt(0)
	s_barrier
	global_load_dwordx4 v[26:29], v[22:23], off offset:2992
	global_load_dwordx4 v[32:35], v[22:23], off offset:3008
	;; [unrolled: 1-line block ×4, first 2 shown]
	ds_read2_b64 v[44:47], v87 offset1:198
	ds_read2_b64 v[48:51], v24 offset0:12 offset1:210
	ds_read2_b64 v[52:55], v25 offset0:24 offset1:222
	ds_read2_b64 v[56:59], v30 offset0:36 offset1:234
	ds_read2_b64 v[60:63], v31 offset0:48 offset1:246
	s_mov_b32 s4, 0x134454ff
	s_mov_b32 s5, 0xbfee6f0e
	;; [unrolled: 1-line block ×10, first 2 shown]
	s_waitcnt vmcnt(0) lgkmcnt(0)
	s_barrier
	v_mul_f64 v[22:23], v[48:49], v[28:29]
	v_mul_f64 v[64:65], v[4:5], v[28:29]
	;; [unrolled: 1-line block ×14, first 2 shown]
	v_fma_f64 v[4:5], v[4:5], v[26:27], v[22:23]
	v_fma_f64 v[22:23], v[48:49], v[26:27], -v[64:65]
	v_fma_f64 v[8:9], v[8:9], v[32:33], v[66:67]
	v_fma_f64 v[48:49], v[52:53], v[32:33], -v[68:69]
	;; [unrolled: 2-line block ×4, first 2 shown]
	v_mul_f64 v[95:96], v[62:63], v[42:43]
	v_mul_f64 v[42:43], v[18:19], v[42:43]
	v_fma_f64 v[6:7], v[6:7], v[26:27], v[89:90]
	v_fma_f64 v[26:27], v[50:51], v[26:27], -v[28:29]
	v_fma_f64 v[10:11], v[10:11], v[32:33], v[91:92]
	v_fma_f64 v[28:29], v[54:55], v[32:33], -v[34:35]
	;; [unrolled: 2-line block ×3, first 2 shown]
	v_add_f64 v[36:37], v[0:1], v[4:5]
	v_add_f64 v[38:39], v[8:9], v[12:13]
	v_add_f64 v[50:51], v[4:5], -v[8:9]
	v_add_f64 v[54:55], v[16:17], -v[12:13]
	v_add_f64 v[58:59], v[4:5], v[16:17]
	v_add_f64 v[64:65], v[44:45], v[22:23]
	;; [unrolled: 1-line block ×4, first 2 shown]
	v_fma_f64 v[18:19], v[18:19], v[40:41], v[95:96]
	v_fma_f64 v[34:35], v[62:63], v[40:41], -v[42:43]
	v_add_f64 v[40:41], v[22:23], -v[56:57]
	v_add_f64 v[42:43], v[48:49], -v[52:53]
	;; [unrolled: 1-line block ×9, first 2 shown]
	v_add_f64 v[91:92], v[10:11], v[14:15]
	v_add_f64 v[8:9], v[36:37], v[8:9]
	v_fma_f64 v[36:37], v[38:39], -0.5, v[0:1]
	v_add_f64 v[38:39], v[50:51], v[54:55]
	v_fma_f64 v[0:1], v[58:59], -0.5, v[0:1]
	;; [unrolled: 2-line block ×3, first 2 shown]
	v_fma_f64 v[44:45], v[83:84], -0.5, v[44:45]
	v_add_f64 v[85:86], v[52:53], -v[56:57]
	v_add_f64 v[89:90], v[2:3], v[6:7]
	v_add_f64 v[93:94], v[26:27], -v[34:35]
	v_add_f64 v[50:51], v[60:61], v[62:63]
	v_add_f64 v[58:59], v[70:71], v[81:82]
	v_fma_f64 v[62:63], v[91:92], -0.5, v[2:3]
	v_add_f64 v[8:9], v[8:9], v[12:13]
	v_fma_f64 v[12:13], v[40:41], s[4:5], v[36:37]
	v_fma_f64 v[36:37], v[40:41], s[10:11], v[36:37]
	;; [unrolled: 1-line block ×4, first 2 shown]
	v_add_f64 v[48:49], v[48:49], v[52:53]
	v_fma_f64 v[52:53], v[4:5], s[10:11], v[54:55]
	v_fma_f64 v[54:55], v[4:5], s[4:5], v[54:55]
	;; [unrolled: 1-line block ×4, first 2 shown]
	v_add_f64 v[95:96], v[28:29], -v[32:33]
	v_add_f64 v[97:98], v[6:7], -v[10:11]
	;; [unrolled: 1-line block ×3, first 2 shown]
	v_add_f64 v[101:102], v[6:7], v[18:19]
	v_add_f64 v[22:23], v[22:23], v[85:86]
	;; [unrolled: 1-line block ×3, first 2 shown]
	v_fma_f64 v[81:82], v[93:94], s[4:5], v[62:63]
	v_add_f64 v[8:9], v[8:9], v[16:17]
	v_fma_f64 v[12:13], v[42:43], s[0:1], v[12:13]
	v_fma_f64 v[16:17], v[42:43], s[6:7], v[36:37]
	;; [unrolled: 1-line block ×4, first 2 shown]
	v_add_f64 v[40:41], v[48:49], v[56:57]
	v_fma_f64 v[42:43], v[68:69], s[6:7], v[52:53]
	v_fma_f64 v[48:49], v[68:69], s[0:1], v[54:55]
	;; [unrolled: 1-line block ×4, first 2 shown]
	v_add_f64 v[64:65], v[97:98], v[99:100]
	v_fma_f64 v[2:3], v[101:102], -0.5, v[2:3]
	v_add_f64 v[60:61], v[60:61], v[14:15]
	v_fma_f64 v[54:55], v[95:96], s[0:1], v[81:82]
	v_fma_f64 v[12:13], v[38:39], s[2:3], v[12:13]
	;; [unrolled: 1-line block ×7, first 2 shown]
	v_add_f64 v[4:5], v[28:29], v[32:33]
	v_add_f64 v[58:59], v[26:27], v[34:35]
	;; [unrolled: 1-line block ×3, first 2 shown]
	v_fma_f64 v[36:37], v[50:51], s[2:3], v[36:37]
	v_fma_f64 v[0:1], v[50:51], s[2:3], v[0:1]
	v_fma_f64 v[50:51], v[64:65], s[2:3], v[54:55]
	v_fma_f64 v[52:53], v[93:94], s[10:11], v[62:63]
	v_fma_f64 v[54:55], v[95:96], s[10:11], v[2:3]
	v_add_f64 v[56:57], v[10:11], -v[6:7]
	v_add_f64 v[60:61], v[14:15], -v[18:19]
	v_add_f64 v[62:63], v[46:47], v[26:27]
	v_fma_f64 v[4:5], v[4:5], -0.5, v[46:47]
	v_add_f64 v[6:7], v[6:7], -v[18:19]
	v_add_f64 v[10:11], v[10:11], -v[14:15]
	v_fma_f64 v[14:15], v[58:59], -0.5, v[46:47]
	v_fma_f64 v[2:3], v[95:96], s[4:5], v[2:3]
	v_fma_f64 v[18:19], v[95:96], s[6:7], v[52:53]
	;; [unrolled: 1-line block ×3, first 2 shown]
	v_add_f64 v[46:47], v[56:57], v[60:61]
	v_add_f64 v[54:55], v[62:63], v[28:29]
	v_fma_f64 v[56:57], v[6:7], s[10:11], v[4:5]
	v_add_f64 v[58:59], v[26:27], -v[28:29]
	v_add_f64 v[60:61], v[34:35], -v[32:33]
	v_fma_f64 v[4:5], v[6:7], s[4:5], v[4:5]
	v_fma_f64 v[62:63], v[10:11], s[4:5], v[14:15]
	v_add_f64 v[26:27], v[28:29], -v[26:27]
	v_add_f64 v[28:29], v[32:33], -v[34:35]
	v_fma_f64 v[14:15], v[10:11], s[10:11], v[14:15]
	v_fma_f64 v[2:3], v[93:94], s[6:7], v[2:3]
	v_add_f64 v[32:33], v[54:55], v[32:33]
	v_fma_f64 v[54:55], v[10:11], s[6:7], v[56:57]
	v_add_f64 v[56:57], v[58:59], v[60:61]
	v_fma_f64 v[4:5], v[10:11], s[0:1], v[4:5]
	v_fma_f64 v[10:11], v[6:7], s[6:7], v[62:63]
	v_add_f64 v[26:27], v[26:27], v[28:29]
	v_fma_f64 v[6:7], v[6:7], s[0:1], v[14:15]
	v_fma_f64 v[14:15], v[64:65], s[2:3], v[18:19]
	v_fma_f64 v[18:19], v[46:47], s[2:3], v[52:53]
	v_fma_f64 v[2:3], v[46:47], s[2:3], v[2:3]
	v_add_f64 v[28:29], v[32:33], v[34:35]
	v_fma_f64 v[34:35], v[56:57], s[2:3], v[4:5]
	ds_write2_b64 v87, v[8:9], v[12:13] offset1:198
	ds_write2_b64 v24, v[36:37], v[0:1] offset0:12 offset1:210
	ds_write2_b64 v25, v[16:17], v[44:45] offset0:24 offset1:222
	;; [unrolled: 1-line block ×4, first 2 shown]
	v_fma_f64 v[46:47], v[26:27], s[2:3], v[10:11]
	v_fma_f64 v[26:27], v[26:27], s[2:3], v[6:7]
	s_waitcnt lgkmcnt(0)
	s_barrier
	ds_read2_b64 v[8:11], v87 offset1:198
	ds_read2_b64 v[4:7], v25 offset0:24 offset1:222
	ds_read2_b64 v[16:19], v30 offset0:36 offset1:234
	;; [unrolled: 1-line block ×4, first 2 shown]
	v_fma_f64 v[32:33], v[56:57], s[2:3], v[54:55]
	s_waitcnt lgkmcnt(0)
	s_barrier
	ds_write2_b64 v87, v[40:41], v[38:39] offset1:198
	ds_write2_b64 v24, v[48:49], v[22:23] offset0:12 offset1:210
	ds_write2_b64 v25, v[42:43], v[28:29] offset0:24 offset1:222
	;; [unrolled: 1-line block ×4, first 2 shown]
	s_waitcnt lgkmcnt(0)
	s_barrier
	s_and_saveexec_b64 s[0:1], vcc
	s_cbranch_execz .LBB0_33
; %bb.32:
	v_mov_b32_e32 v77, v21
	v_lshlrev_b64 v[22:23], 4, v[76:77]
	v_mov_b32_e32 v28, s9
	v_add_co_u32_e32 v20, vcc, s8, v22
	v_addc_co_u32_e32 v23, vcc, v28, v23, vcc
	v_mov_b32_e32 v79, v21
	v_add_co_u32_e32 v22, vcc, 0x3000, v20
	v_lshlrev_b64 v[26:27], 4, v[78:79]
	v_addc_co_u32_e32 v23, vcc, 0, v23, vcc
	v_add_co_u32_e32 v38, vcc, s8, v26
	v_mov_b32_e32 v81, v21
	v_addc_co_u32_e32 v39, vcc, v28, v27, vcc
	v_lshlrev_b64 v[26:27], 4, v[80:81]
	s_movk_i32 s0, 0x3000
	v_add_co_u32_e32 v20, vcc, s8, v26
	v_addc_co_u32_e32 v26, vcc, v28, v27, vcc
	v_mov_b32_e32 v73, v21
	v_add_co_u32_e32 v34, vcc, s0, v20
	v_lshlrev_b64 v[20:21], 4, v[72:73]
	v_addc_co_u32_e32 v35, vcc, 0, v26, vcc
	v_add_co_u32_e32 v36, vcc, s8, v20
	v_addc_co_u32_e32 v37, vcc, v28, v21, vcc
	s_movk_i32 s1, 0x4000
	v_add_co_u32_e32 v20, vcc, s1, v36
	v_addc_co_u32_e32 v21, vcc, 0, v37, vcc
	global_load_dwordx4 v[22:25], v[22:23], off offset:3376
	s_nop 0
	global_load_dwordx4 v[26:29], v[34:35], off offset:3376
	global_load_dwordx4 v[30:33], v[20:21], off offset:2448
	v_add_co_u32_e32 v20, vcc, s0, v36
	v_addc_co_u32_e32 v21, vcc, 0, v37, vcc
	global_load_dwordx4 v[34:37], v[20:21], off offset:3376
	v_add_co_u32_e32 v20, vcc, s0, v38
	v_addc_co_u32_e32 v21, vcc, 0, v39, vcc
	global_load_dwordx4 v[38:41], v[20:21], off offset:3376
	v_mad_u64_u32 v[62:63], s[0:1], s12, v72, 0
	v_add_u32_e32 v20, 0x1800, v87
	ds_read2_b64 v[46:49], v20 offset0:24 offset1:222
	v_mov_b32_e32 v20, v63
	v_add_u32_e32 v54, 0x3000, v87
	v_add_u32_e32 v58, 0xc00, v87
	;; [unrolled: 1-line block ×3, first 2 shown]
	v_mad_u64_u32 v[20:21], s[0:1], s13, v72, v[20:21]
	ds_read2_b64 v[42:45], v87 offset1:198
	ds_read2_b64 v[50:53], v50 offset0:36 offset1:234
	ds_read2_b64 v[54:57], v54 offset0:48 offset1:246
	;; [unrolled: 1-line block ×3, first 2 shown]
	v_mov_b32_e32 v63, v20
	v_mov_b32_e32 v73, s15
	s_mov_b32 s3, 0x21195767
	s_movk_i32 s2, 0x3de
	s_waitcnt vmcnt(4)
	v_mul_f64 v[68:69], v[14:15], v[24:25]
	s_waitcnt vmcnt(3)
	v_mul_f64 v[20:21], v[18:19], v[28:29]
	s_waitcnt lgkmcnt(2)
	v_mul_f64 v[28:29], v[52:53], v[28:29]
	s_waitcnt vmcnt(2)
	v_mul_f64 v[64:65], v[16:17], v[32:33]
	v_mul_f64 v[32:33], v[50:51], v[32:33]
	s_waitcnt lgkmcnt(1)
	v_mul_f64 v[24:25], v[56:57], v[24:25]
	s_waitcnt vmcnt(1)
	v_mul_f64 v[66:67], v[6:7], v[36:37]
	v_mul_f64 v[36:37], v[48:49], v[36:37]
	v_fma_f64 v[20:21], v[52:53], v[26:27], -v[20:21]
	v_fma_f64 v[18:19], v[18:19], v[26:27], v[28:29]
	s_waitcnt vmcnt(0)
	v_mul_f64 v[70:71], v[12:13], v[40:41]
	v_mul_f64 v[40:41], v[54:55], v[40:41]
	v_fma_f64 v[16:17], v[16:17], v[30:31], v[32:33]
	v_fma_f64 v[28:29], v[48:49], v[34:35], -v[66:67]
	v_fma_f64 v[6:7], v[6:7], v[34:35], v[36:37]
	v_fma_f64 v[26:27], v[50:51], v[30:31], -v[64:65]
	v_fma_f64 v[30:31], v[56:57], v[22:23], -v[68:69]
	v_fma_f64 v[24:25], v[14:15], v[22:23], v[24:25]
	s_waitcnt lgkmcnt(0)
	v_add_f64 v[14:15], v[58:59], -v[20:21]
	v_fma_f64 v[34:35], v[12:13], v[38:39], v[40:41]
	v_add_f64 v[16:17], v[10:11], -v[16:17]
	v_add_f64 v[22:23], v[42:43], -v[28:29]
	;; [unrolled: 1-line block ×6, first 2 shown]
	v_fma_f64 v[32:33], v[54:55], v[38:39], -v[70:71]
	v_add_f64 v[28:29], v[2:3], -v[34:35]
	v_fma_f64 v[36:37], v[10:11], 2.0, -v[16:17]
	v_fma_f64 v[10:11], v[42:43], 2.0, -v[22:23]
	;; [unrolled: 1-line block ×3, first 2 shown]
	v_add_f64 v[24:25], v[4:5], -v[24:25]
	v_fma_f64 v[38:39], v[44:45], 2.0, -v[18:19]
	v_fma_f64 v[6:7], v[46:47], 2.0, -v[26:27]
	v_add_u32_e32 v46, 0x3de, v72
	v_add_f64 v[30:31], v[60:61], -v[32:33]
	v_fma_f64 v[32:33], v[0:1], 2.0, -v[12:13]
	v_fma_f64 v[40:41], v[2:3], 2.0, -v[28:29]
	v_add_co_u32_e32 v44, vcc, s14, v74
	v_lshlrev_b64 v[0:1], 4, v[62:63]
	v_mad_u64_u32 v[2:3], s[0:1], s12, v46, 0
	v_addc_co_u32_e32 v45, vcc, v73, v75, vcc
	v_add_co_u32_e32 v0, vcc, v44, v0
	v_addc_co_u32_e32 v1, vcc, v45, v1, vcc
	global_store_dwordx4 v[0:1], v[8:11], off
	v_mov_b32_e32 v0, v3
	v_mad_u64_u32 v[0:1], s[0:1], s13, v46, v[0:1]
	v_mad_u64_u32 v[8:9], s[0:1], s12, v88, 0
	v_mov_b32_e32 v3, v0
	v_lshlrev_b64 v[0:1], 4, v[2:3]
	v_mov_b32_e32 v2, v9
	v_mad_u64_u32 v[2:3], s[0:1], s13, v88, v[2:3]
	v_fma_f64 v[4:5], v[4:5], 2.0, -v[24:25]
	v_add_co_u32_e32 v0, vcc, v44, v0
	v_addc_co_u32_e32 v1, vcc, v45, v1, vcc
	v_mov_b32_e32 v9, v2
	global_store_dwordx4 v[0:1], v[20:23], off
	v_lshlrev_b64 v[0:1], 4, v[8:9]
	v_add_u32_e32 v8, 0x4a4, v72
	v_mad_u64_u32 v[2:3], s[0:1], s12, v8, 0
	v_add_co_u32_e32 v0, vcc, v44, v0
	v_mad_u64_u32 v[8:9], s[0:1], s13, v8, v[3:4]
	v_mul_hi_u32 v9, v80, s3
	v_addc_co_u32_e32 v1, vcc, v45, v1, vcc
	v_mov_b32_e32 v3, v8
	global_store_dwordx4 v[0:1], v[36:39], off
	v_lshlrev_b64 v[0:1], 4, v[2:3]
	v_lshrrev_b32_e32 v2, 7, v9
	v_mad_u32_u24 v10, v2, s2, v80
	v_mad_u64_u32 v[2:3], s[0:1], s12, v10, 0
	v_add_u32_e32 v11, 0x3de, v10
	v_add_co_u32_e32 v0, vcc, v44, v0
	v_mad_u64_u32 v[8:9], s[0:1], s13, v10, v[3:4]
	v_mad_u64_u32 v[9:10], s[0:1], s12, v11, 0
	v_fma_f64 v[34:35], v[58:59], 2.0, -v[14:15]
	v_addc_co_u32_e32 v1, vcc, v45, v1, vcc
	v_mov_b32_e32 v3, v8
	global_store_dwordx4 v[0:1], v[16:19], off
	v_lshlrev_b64 v[0:1], 4, v[2:3]
	v_mov_b32_e32 v2, v10
	v_mad_u64_u32 v[2:3], s[0:1], s13, v11, v[2:3]
	v_mul_hi_u32 v3, v78, s3
	v_add_co_u32_e32 v0, vcc, v44, v0
	v_addc_co_u32_e32 v1, vcc, v45, v1, vcc
	v_mov_b32_e32 v10, v2
	v_lshrrev_b32_e32 v2, 7, v3
	global_store_dwordx4 v[0:1], v[32:35], off
	v_lshlrev_b64 v[0:1], 4, v[9:10]
	v_mad_u32_u24 v10, v2, s2, v78
	v_mad_u64_u32 v[2:3], s[0:1], s12, v10, 0
	v_add_u32_e32 v11, 0x3de, v10
	v_add_co_u32_e32 v0, vcc, v44, v0
	v_mad_u64_u32 v[8:9], s[0:1], s13, v10, v[3:4]
	v_mad_u64_u32 v[9:10], s[0:1], s12, v11, 0
	v_fma_f64 v[42:43], v[60:61], 2.0, -v[30:31]
	v_addc_co_u32_e32 v1, vcc, v45, v1, vcc
	v_mov_b32_e32 v3, v8
	global_store_dwordx4 v[0:1], v[12:15], off
	v_lshlrev_b64 v[0:1], 4, v[2:3]
	v_mov_b32_e32 v2, v10
	v_mad_u64_u32 v[2:3], s[0:1], s13, v11, v[2:3]
	v_mul_hi_u32 v3, v76, s3
	v_add_co_u32_e32 v0, vcc, v44, v0
	v_addc_co_u32_e32 v1, vcc, v45, v1, vcc
	v_mov_b32_e32 v10, v2
	v_lshrrev_b32_e32 v2, 7, v3
	global_store_dwordx4 v[0:1], v[40:43], off
	v_lshlrev_b64 v[0:1], 4, v[9:10]
	v_mad_u32_u24 v10, v2, s2, v76
	v_mad_u64_u32 v[2:3], s[0:1], s12, v10, 0
	v_add_u32_e32 v11, 0x3de, v10
	v_add_co_u32_e32 v0, vcc, v44, v0
	v_mad_u64_u32 v[8:9], s[0:1], s13, v10, v[3:4]
	v_mad_u64_u32 v[9:10], s[0:1], s12, v11, 0
	v_addc_co_u32_e32 v1, vcc, v45, v1, vcc
	v_mov_b32_e32 v3, v8
	global_store_dwordx4 v[0:1], v[28:31], off
	v_lshlrev_b64 v[0:1], 4, v[2:3]
	v_mov_b32_e32 v2, v10
	v_mad_u64_u32 v[2:3], s[0:1], s13, v11, v[2:3]
	v_add_co_u32_e32 v0, vcc, v44, v0
	v_addc_co_u32_e32 v1, vcc, v45, v1, vcc
	v_mov_b32_e32 v10, v2
	global_store_dwordx4 v[0:1], v[4:7], off
	v_lshlrev_b64 v[0:1], 4, v[9:10]
	v_add_co_u32_e32 v0, vcc, v44, v0
	v_addc_co_u32_e32 v1, vcc, v45, v1, vcc
	global_store_dwordx4 v[0:1], v[24:27], off
.LBB0_33:
	s_endpgm
	.section	.rodata,"a",@progbits
	.p2align	6, 0x0
	.amdhsa_kernel fft_rtc_back_len1980_factors_11_2_3_3_5_2_wgs_198_tpt_198_halfLds_dp_ip_CI_sbrr_dirReg
		.amdhsa_group_segment_fixed_size 0
		.amdhsa_private_segment_fixed_size 0
		.amdhsa_kernarg_size 88
		.amdhsa_user_sgpr_count 6
		.amdhsa_user_sgpr_private_segment_buffer 1
		.amdhsa_user_sgpr_dispatch_ptr 0
		.amdhsa_user_sgpr_queue_ptr 0
		.amdhsa_user_sgpr_kernarg_segment_ptr 1
		.amdhsa_user_sgpr_dispatch_id 0
		.amdhsa_user_sgpr_flat_scratch_init 0
		.amdhsa_user_sgpr_private_segment_size 0
		.amdhsa_uses_dynamic_stack 0
		.amdhsa_system_sgpr_private_segment_wavefront_offset 0
		.amdhsa_system_sgpr_workgroup_id_x 1
		.amdhsa_system_sgpr_workgroup_id_y 0
		.amdhsa_system_sgpr_workgroup_id_z 0
		.amdhsa_system_sgpr_workgroup_info 0
		.amdhsa_system_vgpr_workitem_id 0
		.amdhsa_next_free_vgpr 119
		.amdhsa_next_free_sgpr 42
		.amdhsa_reserve_vcc 1
		.amdhsa_reserve_flat_scratch 0
		.amdhsa_float_round_mode_32 0
		.amdhsa_float_round_mode_16_64 0
		.amdhsa_float_denorm_mode_32 3
		.amdhsa_float_denorm_mode_16_64 3
		.amdhsa_dx10_clamp 1
		.amdhsa_ieee_mode 1
		.amdhsa_fp16_overflow 0
		.amdhsa_exception_fp_ieee_invalid_op 0
		.amdhsa_exception_fp_denorm_src 0
		.amdhsa_exception_fp_ieee_div_zero 0
		.amdhsa_exception_fp_ieee_overflow 0
		.amdhsa_exception_fp_ieee_underflow 0
		.amdhsa_exception_fp_ieee_inexact 0
		.amdhsa_exception_int_div_zero 0
	.end_amdhsa_kernel
	.text
.Lfunc_end0:
	.size	fft_rtc_back_len1980_factors_11_2_3_3_5_2_wgs_198_tpt_198_halfLds_dp_ip_CI_sbrr_dirReg, .Lfunc_end0-fft_rtc_back_len1980_factors_11_2_3_3_5_2_wgs_198_tpt_198_halfLds_dp_ip_CI_sbrr_dirReg
                                        ; -- End function
	.section	.AMDGPU.csdata,"",@progbits
; Kernel info:
; codeLenInByte = 11344
; NumSgprs: 46
; NumVgprs: 119
; ScratchSize: 0
; MemoryBound: 1
; FloatMode: 240
; IeeeMode: 1
; LDSByteSize: 0 bytes/workgroup (compile time only)
; SGPRBlocks: 5
; VGPRBlocks: 29
; NumSGPRsForWavesPerEU: 46
; NumVGPRsForWavesPerEU: 119
; Occupancy: 2
; WaveLimiterHint : 1
; COMPUTE_PGM_RSRC2:SCRATCH_EN: 0
; COMPUTE_PGM_RSRC2:USER_SGPR: 6
; COMPUTE_PGM_RSRC2:TRAP_HANDLER: 0
; COMPUTE_PGM_RSRC2:TGID_X_EN: 1
; COMPUTE_PGM_RSRC2:TGID_Y_EN: 0
; COMPUTE_PGM_RSRC2:TGID_Z_EN: 0
; COMPUTE_PGM_RSRC2:TIDIG_COMP_CNT: 0
	.type	__hip_cuid_8d3c1fdcb5501819,@object ; @__hip_cuid_8d3c1fdcb5501819
	.section	.bss,"aw",@nobits
	.globl	__hip_cuid_8d3c1fdcb5501819
__hip_cuid_8d3c1fdcb5501819:
	.byte	0                               ; 0x0
	.size	__hip_cuid_8d3c1fdcb5501819, 1

	.ident	"AMD clang version 19.0.0git (https://github.com/RadeonOpenCompute/llvm-project roc-6.4.0 25133 c7fe45cf4b819c5991fe208aaa96edf142730f1d)"
	.section	".note.GNU-stack","",@progbits
	.addrsig
	.addrsig_sym __hip_cuid_8d3c1fdcb5501819
	.amdgpu_metadata
---
amdhsa.kernels:
  - .args:
      - .actual_access:  read_only
        .address_space:  global
        .offset:         0
        .size:           8
        .value_kind:     global_buffer
      - .offset:         8
        .size:           8
        .value_kind:     by_value
      - .actual_access:  read_only
        .address_space:  global
        .offset:         16
        .size:           8
        .value_kind:     global_buffer
      - .actual_access:  read_only
        .address_space:  global
        .offset:         24
        .size:           8
        .value_kind:     global_buffer
      - .offset:         32
        .size:           8
        .value_kind:     by_value
      - .actual_access:  read_only
        .address_space:  global
        .offset:         40
        .size:           8
        .value_kind:     global_buffer
      - .actual_access:  read_only
        .address_space:  global
        .offset:         48
        .size:           8
        .value_kind:     global_buffer
      - .offset:         56
        .size:           4
        .value_kind:     by_value
      - .actual_access:  read_only
        .address_space:  global
        .offset:         64
        .size:           8
        .value_kind:     global_buffer
      - .actual_access:  read_only
        .address_space:  global
        .offset:         72
        .size:           8
        .value_kind:     global_buffer
      - .address_space:  global
        .offset:         80
        .size:           8
        .value_kind:     global_buffer
    .group_segment_fixed_size: 0
    .kernarg_segment_align: 8
    .kernarg_segment_size: 88
    .language:       OpenCL C
    .language_version:
      - 2
      - 0
    .max_flat_workgroup_size: 198
    .name:           fft_rtc_back_len1980_factors_11_2_3_3_5_2_wgs_198_tpt_198_halfLds_dp_ip_CI_sbrr_dirReg
    .private_segment_fixed_size: 0
    .sgpr_count:     46
    .sgpr_spill_count: 0
    .symbol:         fft_rtc_back_len1980_factors_11_2_3_3_5_2_wgs_198_tpt_198_halfLds_dp_ip_CI_sbrr_dirReg.kd
    .uniform_work_group_size: 1
    .uses_dynamic_stack: false
    .vgpr_count:     119
    .vgpr_spill_count: 0
    .wavefront_size: 64
amdhsa.target:   amdgcn-amd-amdhsa--gfx906
amdhsa.version:
  - 1
  - 2
...

	.end_amdgpu_metadata
